;; amdgpu-corpus repo=ROCm/rocFFT kind=compiled arch=gfx90a opt=O3
	.text
	.amdgcn_target "amdgcn-amd-amdhsa--gfx90a"
	.amdhsa_code_object_version 6
	.protected	bluestein_single_fwd_len672_dim1_sp_op_CI_CI ; -- Begin function bluestein_single_fwd_len672_dim1_sp_op_CI_CI
	.globl	bluestein_single_fwd_len672_dim1_sp_op_CI_CI
	.p2align	8
	.type	bluestein_single_fwd_len672_dim1_sp_op_CI_CI,@function
bluestein_single_fwd_len672_dim1_sp_op_CI_CI: ; @bluestein_single_fwd_len672_dim1_sp_op_CI_CI
; %bb.0:
	s_load_dwordx4 s[16:19], s[4:5], 0x28
	v_mul_u32_u24_e32 v1, 0x493, v0
	v_add_u32_sdwa v74, s6, v1 dst_sel:DWORD dst_unused:UNUSED_PAD src0_sel:DWORD src1_sel:WORD_1
	v_mov_b32_e32 v75, 0
	s_waitcnt lgkmcnt(0)
	v_cmp_gt_u64_e32 vcc, s[16:17], v[74:75]
	s_and_saveexec_b64 s[0:1], vcc
	s_cbranch_execz .LBB0_12
; %bb.1:
	s_load_dwordx4 s[0:3], s[4:5], 0x18
	s_load_dwordx4 s[12:15], s[4:5], 0x0
	v_mov_b32_e32 v2, 56
	v_mul_lo_u16_sdwa v1, v1, v2 dst_sel:DWORD dst_unused:UNUSED_PAD src0_sel:WORD_1 src1_sel:DWORD
	v_sub_u16_e32 v78, v0, v1
	s_waitcnt lgkmcnt(0)
	s_load_dwordx4 s[8:11], s[0:1], 0x0
	v_mov_b32_e32 v26, 0xa80
	v_lshlrev_b32_e32 v75, 3, v78
	v_mov_b32_e32 v27, 0xfffff740
	v_or_b32_e32 v79, 0x1c0, v78
	s_waitcnt lgkmcnt(0)
	v_mad_u64_u32 v[0:1], s[0:1], s10, v74, 0
	v_mov_b32_e32 v4, v1
	v_mad_u64_u32 v[2:3], s[0:1], s8, v78, 0
	v_mad_u64_u32 v[4:5], s[0:1], s11, v74, v[4:5]
	v_mov_b32_e32 v1, v4
	v_mov_b32_e32 v4, v3
	v_mad_u64_u32 v[4:5], s[0:1], s9, v78, v[4:5]
	v_lshlrev_b64 v[0:1], 3, v[0:1]
	v_mov_b32_e32 v3, v4
	v_mov_b32_e32 v4, s19
	v_add_co_u32_e32 v18, vcc, s18, v0
	v_addc_co_u32_e32 v19, vcc, v4, v1, vcc
	v_lshlrev_b64 v[0:1], 3, v[2:3]
	v_add_co_u32_e32 v0, vcc, v18, v0
	v_addc_co_u32_e32 v1, vcc, v19, v1, vcc
	global_load_dwordx2 v[2:3], v[0:1], off
	v_mad_u64_u32 v[0:1], s[0:1], s8, v26, v[0:1]
	s_mul_i32 s6, s9, 0xa80
	v_mov_b32_e32 v4, s13
	v_add_co_u32_e32 v24, vcc, s12, v75
	v_add_u32_e32 v1, s6, v1
	v_addc_co_u32_e32 v25, vcc, 0, v4, vcc
	v_mad_u64_u32 v[4:5], s[0:1], s8, v27, v[0:1]
	s_mul_i32 s0, s9, 0xfffff740
	s_sub_i32 s7, s0, s8
	v_add_u32_e32 v5, s7, v5
	v_mad_u64_u32 v[6:7], s[0:1], s8, v26, v[4:5]
	v_add_u32_e32 v7, s6, v7
	v_mad_u64_u32 v[8:9], s[0:1], s8, v27, v[6:7]
	global_load_dwordx2 v[90:91], v75, s[12:13]
	global_load_dwordx2 v[82:83], v75, s[12:13] offset:448
	global_load_dwordx2 v[88:89], v75, s[12:13] offset:2688
	;; [unrolled: 1-line block ×3, first 2 shown]
	v_add_u32_e32 v9, s7, v9
	global_load_dwordx2 v[10:11], v[0:1], off
	global_load_dwordx2 v[12:13], v[4:5], off
	global_load_dwordx2 v[14:15], v[6:7], off
	global_load_dwordx2 v[16:17], v[8:9], off
	v_mad_u64_u32 v[0:1], s[0:1], s8, v79, 0
	v_mov_b32_e32 v4, v1
	v_mad_u64_u32 v[4:5], s[0:1], s9, v79, v[4:5]
	v_mov_b32_e32 v1, v4
	v_mov_b32_e32 v4, 0x1c0
	v_lshlrev_b64 v[0:1], 3, v[0:1]
	v_mad_u64_u32 v[4:5], s[0:1], s8, v4, v[8:9]
	v_add_co_u32_e32 v0, vcc, v18, v0
	s_mul_i32 s0, s9, 0x1c0
	v_addc_co_u32_e32 v1, vcc, v19, v1, vcc
	v_add_u32_e32 v5, s0, v5
	global_load_dwordx2 v[0:1], v[0:1], off
	s_nop 0
	global_load_dwordx2 v[86:87], v75, s[12:13] offset:896
	global_load_dwordx2 v[6:7], v[4:5], off
	global_load_dwordx2 v[76:77], v75, s[12:13] offset:1344
	global_load_dwordx2 v[84:85], v75, s[12:13] offset:3584
	v_mad_u64_u32 v[4:5], s[0:1], s8, v26, v[4:5]
	v_add_u32_e32 v5, s6, v5
	global_load_dwordx2 v[18:19], v[4:5], off
	global_load_dwordx2 v[72:73], v75, s[12:13] offset:4032
	v_mad_u64_u32 v[4:5], s[0:1], s8, v27, v[4:5]
	v_add_u32_e32 v5, s7, v5
	global_load_dwordx2 v[20:21], v[4:5], off
	global_load_dwordx2 v[70:71], v75, s[12:13] offset:1792
	v_mad_u64_u32 v[4:5], s[0:1], s8, v26, v[4:5]
	s_movk_i32 s0, 0x1000
	v_add_co_u32_e32 v8, vcc, s0, v24
	v_add_u32_e32 v5, s6, v5
	v_addc_co_u32_e32 v9, vcc, 0, v25, vcc
	global_load_dwordx2 v[22:23], v[4:5], off
	global_load_dwordx2 v[68:69], v[8:9], off offset:384
	v_mad_u64_u32 v[4:5], s[0:1], s8, v27, v[4:5]
	v_add_u32_e32 v5, s7, v5
	global_load_dwordx2 v[24:25], v[4:5], off
	global_load_dwordx2 v[66:67], v75, s[12:13] offset:2240
	v_mad_u64_u32 v[4:5], s[0:1], s8, v26, v[4:5]
	v_add_u32_e32 v5, s6, v5
	global_load_dwordx2 v[26:27], v[4:5], off
	global_load_dwordx2 v[64:65], v[8:9], off offset:832
	v_add_u32_e32 v9, 0x800, v75
	s_load_dwordx4 s[8:11], s[2:3], 0x0
	v_add_co_u32_e32 v8, vcc, 56, v78
	v_lshlrev_b32_e32 v40, 1, v78
	v_lshlrev_b32_e32 v160, 4, v78
	;; [unrolled: 1-line block ×3, first 2 shown]
	s_movk_i32 s0, 0x7c
	v_add_u32_e32 v107, 0x70, v78
	v_add_u32_e32 v109, 0xa8, v78
	;; [unrolled: 1-line block ×4, first 2 shown]
	s_movk_i32 s1, 0xe0
	s_movk_i32 s2, 0x1e0
	s_movk_i32 s3, 0x3e0
	v_and_b32_e32 v54, 31, v109
	s_load_dwordx2 s[4:5], s[4:5], 0x38
                                        ; implicit-def: $vgpr143
	s_waitcnt vmcnt(22)
	v_mul_f32_e32 v4, v3, v91
	v_fmac_f32_e32 v4, v2, v90
	v_mul_f32_e32 v2, v2, v91
	v_fma_f32 v5, v3, v90, -v2
	s_waitcnt vmcnt(18)
	v_mul_f32_e32 v2, v11, v89
	v_mul_f32_e32 v3, v10, v89
	v_fmac_f32_e32 v2, v10, v88
	v_fma_f32 v3, v11, v88, -v3
	ds_write_b64 v75, v[2:3] offset:2688
	s_waitcnt vmcnt(17)
	v_mul_f32_e32 v2, v13, v83
	v_mul_f32_e32 v3, v12, v83
	v_fmac_f32_e32 v2, v12, v82
	v_fma_f32 v3, v13, v82, -v3
	ds_write2_b64 v75, v[4:5], v[2:3] offset1:56
	s_waitcnt vmcnt(16)
	v_mul_f32_e32 v2, v15, v81
	v_mul_f32_e32 v3, v14, v81
	v_fmac_f32_e32 v2, v14, v80
	v_fma_f32 v3, v15, v80, -v3
	s_waitcnt vmcnt(13)
	v_mul_f32_e32 v4, v17, v87
	v_mul_f32_e32 v5, v16, v87
	v_fmac_f32_e32 v4, v16, v86
	s_waitcnt vmcnt(10)
	v_mul_f32_e32 v10, v1, v85
	v_fmac_f32_e32 v10, v0, v84
	v_mul_f32_e32 v0, v0, v85
	v_fma_f32 v11, v1, v84, -v0
	v_mul_f32_e32 v0, v7, v77
	v_mul_f32_e32 v1, v6, v77
	v_fma_f32 v5, v17, v86, -v5
	v_fmac_f32_e32 v0, v6, v76
	v_fma_f32 v1, v7, v76, -v1
	ds_write2_b64 v75, v[4:5], v[0:1] offset0:112 offset1:168
	s_waitcnt vmcnt(8)
	v_mul_f32_e32 v0, v19, v73
	v_mul_f32_e32 v1, v18, v73
	v_fmac_f32_e32 v0, v18, v72
	v_fma_f32 v1, v19, v72, -v1
	v_add_u32_e32 v6, 0xc00, v75
	ds_write2_b64 v9, v[2:3], v[10:11] offset0:136 offset1:192
	s_waitcnt vmcnt(6)
	v_mul_f32_e32 v2, v21, v71
	v_mul_f32_e32 v3, v20, v71
	s_waitcnt vmcnt(4)
	v_mul_f32_e32 v4, v23, v69
	v_mul_f32_e32 v5, v22, v69
	v_fmac_f32_e32 v4, v22, v68
	v_fma_f32 v5, v23, v68, -v5
	ds_write2_b64 v6, v[0:1], v[4:5] offset0:120 offset1:176
	s_waitcnt vmcnt(2)
	v_mul_f32_e32 v0, v25, v67
	v_mul_f32_e32 v1, v24, v67
	v_fmac_f32_e32 v2, v20, v70
	v_fma_f32 v3, v21, v70, -v3
	v_fmac_f32_e32 v0, v24, v66
	v_fma_f32 v1, v25, v66, -v1
	v_add_u32_e32 v10, 0x400, v75
	ds_write2_b64 v10, v[2:3], v[0:1] offset0:96 offset1:152
	s_waitcnt vmcnt(0)
	v_mul_f32_e32 v0, v27, v65
	v_mul_f32_e32 v1, v26, v65
	v_fmac_f32_e32 v0, v26, v64
	v_fma_f32 v1, v27, v64, -v1
	ds_write_b64 v75, v[0:1] offset:4928
	s_waitcnt lgkmcnt(0)
	; wave barrier
	s_waitcnt lgkmcnt(0)
	ds_read2_b64 v[0:3], v75 offset1:56
	ds_read2_b64 v[4:7], v9 offset0:80 offset1:136
	v_add_u32_e32 v11, 0x1000, v75
	ds_read2_b64 v[16:19], v75 offset0:112 offset1:168
	ds_read2_b64 v[20:23], v9 offset0:192 offset1:248
	;; [unrolled: 1-line block ×4, first 2 shown]
	s_waitcnt lgkmcnt(4)
	v_pk_add_f32 v[14:15], v[0:1], v[4:5] neg_lo:[0,1] neg_hi:[0,1]
	v_pk_fma_f32 v[12:13], v[0:1], 2.0, v[14:15] op_sel_hi:[1,0,1] neg_lo:[0,0,1] neg_hi:[0,0,1]
	v_pk_add_f32 v[4:5], v[2:3], v[6:7] neg_lo:[0,1] neg_hi:[0,1]
	s_waitcnt lgkmcnt(2)
	v_pk_add_f32 v[26:27], v[16:17], v[20:21] neg_lo:[0,1] neg_hi:[0,1]
	v_pk_add_f32 v[20:21], v[18:19], v[22:23] neg_lo:[0,1] neg_hi:[0,1]
	s_waitcnt lgkmcnt(0)
	v_pk_add_f32 v[38:39], v[28:29], v[32:33] neg_lo:[0,1] neg_hi:[0,1]
	v_pk_add_f32 v[32:33], v[30:31], v[34:35] neg_lo:[0,1] neg_hi:[0,1]
	v_pk_fma_f32 v[2:3], v[2:3], 2.0, v[4:5] op_sel_hi:[1,0,1] neg_lo:[0,0,1] neg_hi:[0,0,1]
	v_pk_fma_f32 v[24:25], v[16:17], 2.0, v[26:27] op_sel_hi:[1,0,1] neg_lo:[0,0,1] neg_hi:[0,0,1]
	;; [unrolled: 1-line block ×3, first 2 shown]
	v_lshlrev_b32_e32 v0, 3, v40
	v_pk_fma_f32 v[36:37], v[28:29], 2.0, v[38:39] op_sel_hi:[1,0,1] neg_lo:[0,0,1] neg_hi:[0,0,1]
	v_pk_fma_f32 v[30:31], v[30:31], 2.0, v[32:33] op_sel_hi:[1,0,1] neg_lo:[0,0,1] neg_hi:[0,0,1]
	s_waitcnt lgkmcnt(0)
	; wave barrier
	ds_write_b128 v160, v[12:15]
	ds_write_b128 v161, v[2:5]
	ds_write_b128 v160, v[24:27] offset:1792
	ds_write_b128 v160, v[18:21] offset:2688
	;; [unrolled: 1-line block ×4, first 2 shown]
	v_and_b32_e32 v4, 1, v78
	v_lshlrev_b32_e32 v0, 3, v4
	s_waitcnt lgkmcnt(0)
	; wave barrier
	s_waitcnt lgkmcnt(0)
	global_load_dwordx2 v[92:93], v0, s[14:15]
	v_lshlrev_b32_e32 v32, 1, v8
	v_and_or_b32 v0, v40, s0, v4
	s_movk_i32 s0, 0xfc
	v_lshlrev_b32_e32 v33, 1, v107
	v_lshlrev_b32_e32 v162, 3, v0
	v_and_or_b32 v0, v32, s0, v4
	s_movk_i32 s0, 0x1fc
	v_lshlrev_b32_e32 v34, 1, v109
	v_lshlrev_b32_e32 v163, 3, v0
	v_and_or_b32 v0, v33, s0, v4
	v_lshlrev_b32_e32 v164, 3, v0
	v_and_or_b32 v0, v34, s0, v4
	s_movk_i32 s0, 0x3fc
	v_lshlrev_b32_e32 v165, 3, v0
	v_and_or_b32 v0, v111, s0, v4
	v_lshlrev_b32_e32 v166, 3, v0
	ds_read2_b64 v[0:3], v11 offset0:48 offset1:104
	v_lshlrev_b32_e32 v35, 1, v103
	s_movk_i32 s0, 0x2fc
	v_and_or_b32 v4, v35, s0, v4
	v_lshlrev_b32_e32 v167, 3, v4
	ds_read2_b64 v[4:7], v10 offset0:96 offset1:152
	s_movk_i32 s0, 0x78
	v_and_b32_e32 v38, 31, v8
	v_and_b32_e32 v39, 31, v107
	s_waitcnt vmcnt(0) lgkmcnt(1)
	v_pk_mul_f32 v[12:13], v[2:3], v[92:93] op_sel:[0,1]
	v_pk_fma_f32 v[14:15], v[2:3], v[92:93], v[12:13] op_sel:[0,0,1] op_sel_hi:[1,1,0] neg_lo:[0,0,1] neg_hi:[0,0,1]
	v_pk_fma_f32 v[2:3], v[2:3], v[92:93], v[12:13] op_sel:[0,0,1] op_sel_hi:[1,0,0]
	v_mov_b32_e32 v15, v3
	s_waitcnt lgkmcnt(0)
	v_pk_add_f32 v[12:13], v[6:7], v[14:15] neg_lo:[0,1] neg_hi:[0,1]
	v_pk_mul_f32 v[2:3], v[0:1], v[92:93] op_sel:[0,1]
	v_pk_fma_f32 v[14:15], v[6:7], 2.0, v[12:13] op_sel_hi:[1,0,1] neg_lo:[0,0,1] neg_hi:[0,0,1]
	v_pk_fma_f32 v[6:7], v[0:1], v[92:93], v[2:3] op_sel:[0,0,1] op_sel_hi:[1,1,0] neg_lo:[0,0,1] neg_hi:[0,0,1]
	v_pk_fma_f32 v[16:17], v[0:1], v[92:93], v[2:3] op_sel:[0,0,1] op_sel_hi:[1,0,0]
	ds_read2_b64 v[0:3], v9 offset0:192 offset1:248
	v_mov_b32_e32 v7, v17
	v_pk_add_f32 v[16:17], v[4:5], v[6:7] neg_lo:[0,1] neg_hi:[0,1]
	v_pk_fma_f32 v[18:19], v[4:5], 2.0, v[16:17] op_sel_hi:[1,0,1] neg_lo:[0,0,1] neg_hi:[0,0,1]
	ds_read2_b64 v[4:7], v75 offset0:112 offset1:168
	s_waitcnt lgkmcnt(1)
	v_pk_mul_f32 v[20:21], v[2:3], v[92:93] op_sel:[0,1]
	v_pk_fma_f32 v[22:23], v[2:3], v[92:93], v[20:21] op_sel:[0,0,1] op_sel_hi:[1,1,0] neg_lo:[0,0,1] neg_hi:[0,0,1]
	v_pk_fma_f32 v[2:3], v[2:3], v[92:93], v[20:21] op_sel:[0,0,1] op_sel_hi:[1,0,0]
	v_mov_b32_e32 v23, v3
	s_waitcnt lgkmcnt(0)
	v_pk_add_f32 v[20:21], v[6:7], v[22:23] neg_lo:[0,1] neg_hi:[0,1]
	v_pk_mul_f32 v[2:3], v[0:1], v[92:93] op_sel:[0,1]
	v_pk_fma_f32 v[22:23], v[6:7], 2.0, v[20:21] op_sel_hi:[1,0,1] neg_lo:[0,0,1] neg_hi:[0,0,1]
	v_pk_fma_f32 v[6:7], v[0:1], v[92:93], v[2:3] op_sel:[0,0,1] op_sel_hi:[1,1,0] neg_lo:[0,0,1] neg_hi:[0,0,1]
	v_pk_fma_f32 v[24:25], v[0:1], v[92:93], v[2:3] op_sel:[0,0,1] op_sel_hi:[1,0,0]
	ds_read2_b64 v[0:3], v9 offset0:80 offset1:136
	v_mov_b32_e32 v7, v25
	v_pk_add_f32 v[24:25], v[4:5], v[6:7] neg_lo:[0,1] neg_hi:[0,1]
	v_pk_fma_f32 v[26:27], v[4:5], 2.0, v[24:25] op_sel_hi:[1,0,1] neg_lo:[0,0,1] neg_hi:[0,0,1]
	ds_read2_b64 v[4:7], v75 offset1:56
	s_waitcnt lgkmcnt(1)
	v_pk_mul_f32 v[28:29], v[2:3], v[92:93] op_sel:[0,1]
	v_pk_fma_f32 v[30:31], v[2:3], v[92:93], v[28:29] op_sel:[0,0,1] op_sel_hi:[1,1,0] neg_lo:[0,0,1] neg_hi:[0,0,1]
	v_pk_fma_f32 v[2:3], v[2:3], v[92:93], v[28:29] op_sel:[0,0,1] op_sel_hi:[1,0,0]
	v_mov_b32_e32 v31, v3
	v_pk_mul_f32 v[28:29], v[0:1], v[92:93] op_sel:[0,1]
	s_waitcnt lgkmcnt(0)
	v_pk_add_f32 v[2:3], v[6:7], v[30:31] neg_lo:[0,1] neg_hi:[0,1]
	v_pk_fma_f32 v[30:31], v[0:1], v[92:93], v[28:29] op_sel:[0,0,1] op_sel_hi:[1,1,0] neg_lo:[0,0,1] neg_hi:[0,0,1]
	v_pk_fma_f32 v[0:1], v[0:1], v[92:93], v[28:29] op_sel:[0,0,1] op_sel_hi:[1,0,0]
	v_mov_b32_e32 v31, v1
	v_pk_add_f32 v[0:1], v[4:5], v[30:31] neg_lo:[0,1] neg_hi:[0,1]
	v_pk_fma_f32 v[4:5], v[4:5], 2.0, v[0:1] op_sel_hi:[1,0,1] neg_lo:[0,0,1] neg_hi:[0,0,1]
	v_pk_fma_f32 v[6:7], v[6:7], 2.0, v[2:3] op_sel_hi:[1,0,1] neg_lo:[0,0,1] neg_hi:[0,0,1]
	s_waitcnt lgkmcnt(0)
	; wave barrier
	ds_write2_b64 v162, v[4:5], v[0:1] offset1:2
	ds_write2_b64 v163, v[6:7], v[2:3] offset1:2
	;; [unrolled: 1-line block ×6, first 2 shown]
	v_and_b32_e32 v4, 3, v78
	v_lshlrev_b32_e32 v0, 3, v4
	s_waitcnt lgkmcnt(0)
	; wave barrier
	s_waitcnt lgkmcnt(0)
	global_load_dwordx2 v[94:95], v0, s[14:15] offset:16
	v_and_or_b32 v0, v40, s0, v4
	s_movk_i32 s0, 0xf8
	v_lshlrev_b32_e32 v168, 3, v0
	v_and_or_b32 v0, v32, s0, v4
	s_movk_i32 s0, 0x1f8
	v_lshlrev_b32_e32 v169, 3, v0
	v_and_or_b32 v0, v33, s0, v4
	v_lshlrev_b32_e32 v170, 3, v0
	v_and_or_b32 v0, v34, s0, v4
	s_movk_i32 s0, 0x3f8
	v_lshlrev_b32_e32 v171, 3, v0
	v_and_or_b32 v0, v111, s0, v4
	v_lshlrev_b32_e32 v172, 3, v0
	ds_read2_b64 v[0:3], v11 offset0:48 offset1:104
	s_movk_i32 s0, 0x2f8
	v_and_or_b32 v4, v35, s0, v4
	v_lshlrev_b32_e32 v173, 3, v4
	ds_read2_b64 v[4:7], v10 offset0:96 offset1:152
	s_movk_i32 s0, 0x70
	s_waitcnt vmcnt(0) lgkmcnt(1)
	v_pk_mul_f32 v[12:13], v[2:3], v[94:95] op_sel:[0,1]
	v_pk_fma_f32 v[14:15], v[2:3], v[94:95], v[12:13] op_sel:[0,0,1] op_sel_hi:[1,1,0] neg_lo:[0,0,1] neg_hi:[0,0,1]
	v_pk_fma_f32 v[2:3], v[2:3], v[94:95], v[12:13] op_sel:[0,0,1] op_sel_hi:[1,0,0]
	v_mov_b32_e32 v15, v3
	s_waitcnt lgkmcnt(0)
	v_pk_add_f32 v[12:13], v[6:7], v[14:15] neg_lo:[0,1] neg_hi:[0,1]
	v_pk_mul_f32 v[2:3], v[0:1], v[94:95] op_sel:[0,1]
	v_pk_fma_f32 v[14:15], v[6:7], 2.0, v[12:13] op_sel_hi:[1,0,1] neg_lo:[0,0,1] neg_hi:[0,0,1]
	v_pk_fma_f32 v[6:7], v[0:1], v[94:95], v[2:3] op_sel:[0,0,1] op_sel_hi:[1,1,0] neg_lo:[0,0,1] neg_hi:[0,0,1]
	v_pk_fma_f32 v[16:17], v[0:1], v[94:95], v[2:3] op_sel:[0,0,1] op_sel_hi:[1,0,0]
	ds_read2_b64 v[0:3], v9 offset0:192 offset1:248
	v_mov_b32_e32 v7, v17
	v_pk_add_f32 v[16:17], v[4:5], v[6:7] neg_lo:[0,1] neg_hi:[0,1]
	v_pk_fma_f32 v[18:19], v[4:5], 2.0, v[16:17] op_sel_hi:[1,0,1] neg_lo:[0,0,1] neg_hi:[0,0,1]
	ds_read2_b64 v[4:7], v75 offset0:112 offset1:168
	s_waitcnt lgkmcnt(1)
	v_pk_mul_f32 v[20:21], v[2:3], v[94:95] op_sel:[0,1]
	v_pk_fma_f32 v[22:23], v[2:3], v[94:95], v[20:21] op_sel:[0,0,1] op_sel_hi:[1,1,0] neg_lo:[0,0,1] neg_hi:[0,0,1]
	v_pk_fma_f32 v[2:3], v[2:3], v[94:95], v[20:21] op_sel:[0,0,1] op_sel_hi:[1,0,0]
	v_mov_b32_e32 v23, v3
	s_waitcnt lgkmcnt(0)
	v_pk_add_f32 v[20:21], v[6:7], v[22:23] neg_lo:[0,1] neg_hi:[0,1]
	v_pk_mul_f32 v[2:3], v[0:1], v[94:95] op_sel:[0,1]
	v_pk_fma_f32 v[22:23], v[6:7], 2.0, v[20:21] op_sel_hi:[1,0,1] neg_lo:[0,0,1] neg_hi:[0,0,1]
	v_pk_fma_f32 v[6:7], v[0:1], v[94:95], v[2:3] op_sel:[0,0,1] op_sel_hi:[1,1,0] neg_lo:[0,0,1] neg_hi:[0,0,1]
	v_pk_fma_f32 v[24:25], v[0:1], v[94:95], v[2:3] op_sel:[0,0,1] op_sel_hi:[1,0,0]
	ds_read2_b64 v[0:3], v9 offset0:80 offset1:136
	v_mov_b32_e32 v7, v25
	v_pk_add_f32 v[24:25], v[4:5], v[6:7] neg_lo:[0,1] neg_hi:[0,1]
	v_pk_fma_f32 v[26:27], v[4:5], 2.0, v[24:25] op_sel_hi:[1,0,1] neg_lo:[0,0,1] neg_hi:[0,0,1]
	ds_read2_b64 v[4:7], v75 offset1:56
	s_waitcnt lgkmcnt(1)
	v_pk_mul_f32 v[28:29], v[2:3], v[94:95] op_sel:[0,1]
	v_pk_fma_f32 v[30:31], v[2:3], v[94:95], v[28:29] op_sel:[0,0,1] op_sel_hi:[1,1,0] neg_lo:[0,0,1] neg_hi:[0,0,1]
	v_pk_fma_f32 v[2:3], v[2:3], v[94:95], v[28:29] op_sel:[0,0,1] op_sel_hi:[1,0,0]
	v_mov_b32_e32 v31, v3
	v_pk_mul_f32 v[28:29], v[0:1], v[94:95] op_sel:[0,1]
	s_waitcnt lgkmcnt(0)
	v_pk_add_f32 v[2:3], v[6:7], v[30:31] neg_lo:[0,1] neg_hi:[0,1]
	v_pk_fma_f32 v[30:31], v[0:1], v[94:95], v[28:29] op_sel:[0,0,1] op_sel_hi:[1,1,0] neg_lo:[0,0,1] neg_hi:[0,0,1]
	v_pk_fma_f32 v[0:1], v[0:1], v[94:95], v[28:29] op_sel:[0,0,1] op_sel_hi:[1,0,0]
	v_mov_b32_e32 v31, v1
	v_pk_add_f32 v[0:1], v[4:5], v[30:31] neg_lo:[0,1] neg_hi:[0,1]
	v_pk_fma_f32 v[4:5], v[4:5], 2.0, v[0:1] op_sel_hi:[1,0,1] neg_lo:[0,0,1] neg_hi:[0,0,1]
	v_pk_fma_f32 v[6:7], v[6:7], 2.0, v[2:3] op_sel_hi:[1,0,1] neg_lo:[0,0,1] neg_hi:[0,0,1]
	s_waitcnt lgkmcnt(0)
	; wave barrier
	ds_write2_b64 v168, v[4:5], v[0:1] offset1:4
	ds_write2_b64 v169, v[6:7], v[2:3] offset1:4
	;; [unrolled: 1-line block ×6, first 2 shown]
	v_and_b32_e32 v4, 7, v78
	v_lshlrev_b32_e32 v0, 3, v4
	s_waitcnt lgkmcnt(0)
	; wave barrier
	s_waitcnt lgkmcnt(0)
	global_load_dwordx2 v[96:97], v0, s[14:15] offset:48
	v_and_or_b32 v0, v40, s0, v4
	s_movk_i32 s0, 0xf0
	v_lshlrev_b32_e32 v174, 3, v0
	v_and_or_b32 v0, v32, s0, v4
	s_movk_i32 s0, 0x1f0
	v_lshlrev_b32_e32 v175, 3, v0
	v_and_or_b32 v0, v33, s0, v4
	v_lshlrev_b32_e32 v176, 3, v0
	v_and_or_b32 v0, v34, s0, v4
	s_movk_i32 s0, 0x3f0
	v_lshlrev_b32_e32 v177, 3, v0
	v_and_or_b32 v0, v111, s0, v4
	v_lshlrev_b32_e32 v178, 3, v0
	ds_read2_b64 v[0:3], v11 offset0:48 offset1:104
	s_movk_i32 s0, 0x2f0
	v_and_or_b32 v4, v35, s0, v4
	v_lshlrev_b32_e32 v179, 3, v4
	ds_read2_b64 v[4:7], v10 offset0:96 offset1:152
	s_movk_i32 s0, 0x60
	s_waitcnt vmcnt(0) lgkmcnt(1)
	v_pk_mul_f32 v[12:13], v[2:3], v[96:97] op_sel:[0,1]
	v_pk_fma_f32 v[14:15], v[2:3], v[96:97], v[12:13] op_sel:[0,0,1] op_sel_hi:[1,1,0] neg_lo:[0,0,1] neg_hi:[0,0,1]
	v_pk_fma_f32 v[2:3], v[2:3], v[96:97], v[12:13] op_sel:[0,0,1] op_sel_hi:[1,0,0]
	v_mov_b32_e32 v15, v3
	s_waitcnt lgkmcnt(0)
	v_pk_add_f32 v[12:13], v[6:7], v[14:15] neg_lo:[0,1] neg_hi:[0,1]
	v_pk_mul_f32 v[2:3], v[0:1], v[96:97] op_sel:[0,1]
	v_pk_fma_f32 v[14:15], v[6:7], 2.0, v[12:13] op_sel_hi:[1,0,1] neg_lo:[0,0,1] neg_hi:[0,0,1]
	v_pk_fma_f32 v[6:7], v[0:1], v[96:97], v[2:3] op_sel:[0,0,1] op_sel_hi:[1,1,0] neg_lo:[0,0,1] neg_hi:[0,0,1]
	v_pk_fma_f32 v[16:17], v[0:1], v[96:97], v[2:3] op_sel:[0,0,1] op_sel_hi:[1,0,0]
	ds_read2_b64 v[0:3], v9 offset0:192 offset1:248
	v_mov_b32_e32 v7, v17
	v_pk_add_f32 v[16:17], v[4:5], v[6:7] neg_lo:[0,1] neg_hi:[0,1]
	v_pk_fma_f32 v[18:19], v[4:5], 2.0, v[16:17] op_sel_hi:[1,0,1] neg_lo:[0,0,1] neg_hi:[0,0,1]
	ds_read2_b64 v[4:7], v75 offset0:112 offset1:168
	s_waitcnt lgkmcnt(1)
	v_pk_mul_f32 v[20:21], v[2:3], v[96:97] op_sel:[0,1]
	v_pk_fma_f32 v[22:23], v[2:3], v[96:97], v[20:21] op_sel:[0,0,1] op_sel_hi:[1,1,0] neg_lo:[0,0,1] neg_hi:[0,0,1]
	v_pk_fma_f32 v[2:3], v[2:3], v[96:97], v[20:21] op_sel:[0,0,1] op_sel_hi:[1,0,0]
	v_mov_b32_e32 v23, v3
	s_waitcnt lgkmcnt(0)
	v_pk_add_f32 v[20:21], v[6:7], v[22:23] neg_lo:[0,1] neg_hi:[0,1]
	v_pk_mul_f32 v[2:3], v[0:1], v[96:97] op_sel:[0,1]
	v_pk_fma_f32 v[22:23], v[6:7], 2.0, v[20:21] op_sel_hi:[1,0,1] neg_lo:[0,0,1] neg_hi:[0,0,1]
	v_pk_fma_f32 v[6:7], v[0:1], v[96:97], v[2:3] op_sel:[0,0,1] op_sel_hi:[1,1,0] neg_lo:[0,0,1] neg_hi:[0,0,1]
	v_pk_fma_f32 v[24:25], v[0:1], v[96:97], v[2:3] op_sel:[0,0,1] op_sel_hi:[1,0,0]
	ds_read2_b64 v[0:3], v9 offset0:80 offset1:136
	v_mov_b32_e32 v7, v25
	v_pk_add_f32 v[24:25], v[4:5], v[6:7] neg_lo:[0,1] neg_hi:[0,1]
	v_pk_fma_f32 v[26:27], v[4:5], 2.0, v[24:25] op_sel_hi:[1,0,1] neg_lo:[0,0,1] neg_hi:[0,0,1]
	ds_read2_b64 v[4:7], v75 offset1:56
	s_waitcnt lgkmcnt(1)
	v_pk_mul_f32 v[28:29], v[2:3], v[96:97] op_sel:[0,1]
	v_pk_fma_f32 v[30:31], v[2:3], v[96:97], v[28:29] op_sel:[0,0,1] op_sel_hi:[1,1,0] neg_lo:[0,0,1] neg_hi:[0,0,1]
	v_pk_fma_f32 v[2:3], v[2:3], v[96:97], v[28:29] op_sel:[0,0,1] op_sel_hi:[1,0,0]
	v_mov_b32_e32 v31, v3
	v_pk_mul_f32 v[28:29], v[0:1], v[96:97] op_sel:[0,1]
	s_waitcnt lgkmcnt(0)
	v_pk_add_f32 v[2:3], v[6:7], v[30:31] neg_lo:[0,1] neg_hi:[0,1]
	v_pk_fma_f32 v[30:31], v[0:1], v[96:97], v[28:29] op_sel:[0,0,1] op_sel_hi:[1,1,0] neg_lo:[0,0,1] neg_hi:[0,0,1]
	v_pk_fma_f32 v[0:1], v[0:1], v[96:97], v[28:29] op_sel:[0,0,1] op_sel_hi:[1,0,0]
	v_mov_b32_e32 v31, v1
	v_pk_add_f32 v[0:1], v[4:5], v[30:31] neg_lo:[0,1] neg_hi:[0,1]
	v_pk_fma_f32 v[4:5], v[4:5], 2.0, v[0:1] op_sel_hi:[1,0,1] neg_lo:[0,0,1] neg_hi:[0,0,1]
	v_pk_fma_f32 v[6:7], v[6:7], 2.0, v[2:3] op_sel_hi:[1,0,1] neg_lo:[0,0,1] neg_hi:[0,0,1]
	s_waitcnt lgkmcnt(0)
	; wave barrier
	ds_write2_b64 v174, v[4:5], v[0:1] offset1:8
	ds_write2_b64 v175, v[6:7], v[2:3] offset1:8
	;; [unrolled: 1-line block ×6, first 2 shown]
	v_and_b32_e32 v0, 15, v109
	v_lshlrev_b32_e32 v1, 3, v0
	v_and_b32_e32 v4, 15, v103
	s_waitcnt lgkmcnt(0)
	; wave barrier
	s_waitcnt lgkmcnt(0)
	global_load_dwordx2 v[104:105], v1, s[14:15] offset:112
	v_lshlrev_b32_e32 v1, 3, v4
	global_load_dword v106, v1, s[14:15] offset:116
	global_load_dwordx2 v[100:101], v1, s[14:15] offset:112
	v_and_b32_e32 v1, 15, v78
	v_lshlrev_b32_e32 v2, 3, v1
	global_load_dwordx2 v[98:99], v2, s[14:15] offset:112
	v_and_b32_e32 v2, 15, v8
	v_lshlrev_b32_e32 v3, 3, v2
	global_load_dword v102, v3, s[14:15] offset:112
	v_and_or_b32 v3, v40, s0, v1
	v_lshlrev_b32_e32 v180, 3, v3
	v_and_or_b32 v2, v32, s1, v2
	v_and_or_b32 v3, v33, s2, v1
	;; [unrolled: 1-line block ×4, first 2 shown]
	v_lshlrev_b32_e32 v181, 3, v2
	v_lshlrev_b32_e32 v182, 3, v3
	;; [unrolled: 1-line block ×4, first 2 shown]
	ds_read2_b64 v[0:3], v11 offset0:48 offset1:104
	s_movk_i32 s0, 0x2e0
	v_and_or_b32 v4, v35, s0, v4
	v_lshlrev_b32_e32 v185, 3, v4
	ds_read2_b64 v[4:7], v10 offset0:96 offset1:152
	s_mov_b32 s0, 0x3f5db3d7
	v_cmp_lt_u16_e64 s[2:3], 39, v78
	s_waitcnt vmcnt(4)
	v_mov_b32_e32 v108, v105
	s_waitcnt vmcnt(3) lgkmcnt(1)
	v_pk_mul_f32 v[12:13], v[2:3], v[106:107] op_sel_hi:[1,0]
	s_waitcnt vmcnt(2)
	v_pk_fma_f32 v[14:15], v[2:3], v[100:101], v[12:13] op_sel:[0,0,1] op_sel_hi:[1,1,0] neg_lo:[0,0,1] neg_hi:[0,0,1]
	v_pk_fma_f32 v[2:3], v[2:3], v[100:101], v[12:13] op_sel:[0,0,1] op_sel_hi:[1,0,0]
	v_mov_b32_e32 v15, v3
	s_waitcnt lgkmcnt(0)
	v_pk_add_f32 v[12:13], v[6:7], v[14:15] neg_lo:[0,1] neg_hi:[0,1]
	s_waitcnt vmcnt(1)
	v_pk_mul_f32 v[2:3], v[0:1], v[98:99] op_sel:[0,1]
	v_pk_fma_f32 v[14:15], v[6:7], 2.0, v[12:13] op_sel_hi:[1,0,1] neg_lo:[0,0,1] neg_hi:[0,0,1]
	v_pk_fma_f32 v[6:7], v[0:1], v[98:99], v[2:3] op_sel:[0,0,1] op_sel_hi:[1,1,0] neg_lo:[0,0,1] neg_hi:[0,0,1]
	v_pk_fma_f32 v[16:17], v[0:1], v[98:99], v[2:3] op_sel:[0,0,1] op_sel_hi:[1,0,0]
	ds_read2_b64 v[0:3], v9 offset0:192 offset1:248
	v_mov_b32_e32 v7, v17
	v_pk_add_f32 v[16:17], v[4:5], v[6:7] neg_lo:[0,1] neg_hi:[0,1]
	v_pk_fma_f32 v[18:19], v[4:5], 2.0, v[16:17] op_sel_hi:[1,0,1] neg_lo:[0,0,1] neg_hi:[0,0,1]
	ds_read2_b64 v[4:7], v75 offset0:112 offset1:168
	s_waitcnt lgkmcnt(1)
	v_pk_mul_f32 v[20:21], v[2:3], v[108:109] op_sel_hi:[1,0]
	v_pk_fma_f32 v[22:23], v[2:3], v[104:105], v[20:21] op_sel:[0,0,1] op_sel_hi:[1,1,0] neg_lo:[0,0,1] neg_hi:[0,0,1]
	v_pk_fma_f32 v[2:3], v[2:3], v[104:105], v[20:21] op_sel:[0,0,1] op_sel_hi:[1,0,0]
	v_mov_b32_e32 v23, v3
	s_waitcnt lgkmcnt(0)
	v_pk_add_f32 v[20:21], v[6:7], v[22:23] neg_lo:[0,1] neg_hi:[0,1]
	v_pk_mul_f32 v[2:3], v[0:1], v[98:99] op_sel:[0,1]
	v_pk_fma_f32 v[22:23], v[6:7], 2.0, v[20:21] op_sel_hi:[1,0,1] neg_lo:[0,0,1] neg_hi:[0,0,1]
	v_pk_fma_f32 v[6:7], v[0:1], v[98:99], v[2:3] op_sel:[0,0,1] op_sel_hi:[1,1,0] neg_lo:[0,0,1] neg_hi:[0,0,1]
	v_pk_fma_f32 v[24:25], v[0:1], v[98:99], v[2:3] op_sel:[0,0,1] op_sel_hi:[1,0,0]
	ds_read2_b64 v[0:3], v9 offset0:80 offset1:136
	v_mov_b32_e32 v7, v25
	v_pk_add_f32 v[24:25], v[4:5], v[6:7] neg_lo:[0,1] neg_hi:[0,1]
	v_pk_fma_f32 v[26:27], v[4:5], 2.0, v[24:25] op_sel_hi:[1,0,1] neg_lo:[0,0,1] neg_hi:[0,0,1]
	ds_read2_b64 v[4:7], v75 offset1:56
	s_waitcnt lgkmcnt(1)
	v_pk_mul_f32 v[28:29], v[2:3], v[100:101] op_sel:[0,1]
	s_waitcnt vmcnt(0)
	v_pk_fma_f32 v[30:31], v[2:3], v[102:103], v[28:29] op_sel:[0,0,1] op_sel_hi:[1,1,0] neg_lo:[0,0,1] neg_hi:[0,0,1]
	v_pk_fma_f32 v[2:3], v[2:3], v[102:103], v[28:29] op_sel:[0,0,1] op_sel_hi:[1,0,0]
	v_mov_b32_e32 v31, v3
	v_pk_mul_f32 v[28:29], v[0:1], v[98:99] op_sel:[0,1]
	s_waitcnt lgkmcnt(0)
	v_pk_add_f32 v[2:3], v[6:7], v[30:31] neg_lo:[0,1] neg_hi:[0,1]
	v_pk_fma_f32 v[30:31], v[0:1], v[98:99], v[28:29] op_sel:[0,0,1] op_sel_hi:[1,1,0] neg_lo:[0,0,1] neg_hi:[0,0,1]
	v_pk_fma_f32 v[0:1], v[0:1], v[98:99], v[28:29] op_sel:[0,0,1] op_sel_hi:[1,0,0]
	v_mov_b32_e32 v31, v1
	v_pk_add_f32 v[0:1], v[4:5], v[30:31] neg_lo:[0,1] neg_hi:[0,1]
	v_pk_fma_f32 v[4:5], v[4:5], 2.0, v[0:1] op_sel_hi:[1,0,1] neg_lo:[0,0,1] neg_hi:[0,0,1]
	v_pk_fma_f32 v[6:7], v[6:7], 2.0, v[2:3] op_sel_hi:[1,0,1] neg_lo:[0,0,1] neg_hi:[0,0,1]
	s_waitcnt lgkmcnt(0)
	; wave barrier
	ds_write2_b64 v180, v[4:5], v[0:1] offset1:16
	ds_write2_b64 v181, v[6:7], v[2:3] offset1:16
	;; [unrolled: 1-line block ×6, first 2 shown]
	v_and_b32_e32 v12, 31, v78
	v_lshlrev_b32_e32 v13, 4, v12
	s_waitcnt lgkmcnt(0)
	; wave barrier
	s_waitcnt lgkmcnt(0)
	v_lshlrev_b32_e32 v14, 4, v38
	global_load_dwordx4 v[0:3], v13, s[14:15] offset:240
	global_load_dwordx4 v[4:7], v14, s[14:15] offset:240
	v_lshlrev_b32_e32 v13, 4, v39
	global_load_dwordx4 v[24:27], v13, s[14:15] offset:240
	v_lshlrev_b32_e32 v13, 4, v54
	global_load_dwordx4 v[20:23], v13, s[14:15] offset:240
	v_lshrrev_b32_e32 v13, 5, v78
	v_mul_u32_u24_e32 v13, 0x60, v13
	v_or_b32_e32 v42, v13, v12
	ds_read2_b64 v[12:15], v75 offset0:112 offset1:168
	ds_read2_b64 v[16:19], v9 offset0:80 offset1:136
	;; [unrolled: 1-line block ×3, first 2 shown]
	v_lshrrev_b32_e32 v11, 5, v8
	v_mul_u32_u24_e32 v11, 0x60, v11
	v_or_b32_e32 v11, v11, v38
	v_lshlrev_b32_e32 v186, 3, v11
	v_lshrrev_b32_e32 v11, 5, v107
	v_mul_u32_u24_e32 v11, 0x60, v11
	v_or_b32_e32 v11, v11, v39
	v_lshlrev_b32_e32 v188, 3, v42
	v_lshlrev_b32_e32 v187, 3, v11
	s_waitcnt vmcnt(3)
	v_mov_b32_e32 v112, v0
	s_waitcnt vmcnt(2)
	v_mov_b32_e32 v116, v4
	v_mov_b32_e32 v114, v7
	s_waitcnt vmcnt(1)
	v_mov_b32_e32 v120, v24
	v_mov_b32_e32 v118, v27
	s_waitcnt vmcnt(0) lgkmcnt(1)
	v_pk_mul_f32 v[32:33], v[18:19], v[20:21] op_sel:[0,1]
	v_mov_b32_e32 v34, v23
	v_pk_fma_f32 v[36:37], v[18:19], v[20:21], v[32:33] op_sel:[0,0,1] op_sel_hi:[1,1,0] neg_lo:[0,0,1] neg_hi:[0,0,1]
	v_pk_fma_f32 v[18:19], v[18:19], v[20:21], v[32:33] op_sel:[0,0,1] op_sel_hi:[1,0,0]
	s_waitcnt lgkmcnt(0)
	v_pk_mul_f32 v[32:33], v[30:31], v[34:35] op_sel_hi:[1,0]
	v_mov_b32_e32 v37, v19
	v_pk_fma_f32 v[34:35], v[30:31], v[22:23], v[32:33] op_sel:[0,0,1] op_sel_hi:[1,1,0] neg_lo:[0,0,1] neg_hi:[0,0,1]
	v_pk_fma_f32 v[30:31], v[30:31], v[22:23], v[32:33] op_sel:[0,0,1] op_sel_hi:[1,0,0]
	v_mov_b32_e32 v35, v31
	v_pk_add_f32 v[32:33], v[14:15], v[36:37]
	v_pk_add_f32 v[40:41], v[32:33], v[34:35]
	v_pk_mul_f32 v[32:33], v[16:17], v[24:25] op_sel:[0,1]
	v_pk_fma_f32 v[38:39], v[16:17], v[120:121], v[32:33] op_sel:[0,0,1] op_sel_hi:[1,1,0] neg_lo:[0,0,1] neg_hi:[0,0,1]
	v_pk_fma_f32 v[16:17], v[16:17], v[24:25], v[32:33] op_sel:[0,0,1] op_sel_hi:[1,0,0]
	v_pk_mul_f32 v[32:33], v[28:29], v[118:119] op_sel_hi:[1,0]
	v_mov_b32_e32 v39, v17
	v_pk_fma_f32 v[42:43], v[28:29], v[26:27], v[32:33] op_sel:[0,0,1] op_sel_hi:[1,1,0] neg_lo:[0,0,1] neg_hi:[0,0,1]
	v_pk_fma_f32 v[28:29], v[28:29], v[26:27], v[32:33] op_sel:[0,0,1] op_sel_hi:[1,0,0]
	v_mov_b32_e32 v43, v29
	v_mov_b32_e32 v18, v17
	;; [unrolled: 1-line block ×3, first 2 shown]
	v_pk_add_f32 v[16:17], v[12:13], v[38:39]
	v_mov_b32_e32 v32, v38
	v_pk_add_f32 v[44:45], v[18:19], v[30:31] neg_lo:[0,1] neg_hi:[0,1]
	v_pk_add_f32 v[38:39], v[16:17], v[42:43]
	v_pk_add_f32 v[16:17], v[18:19], v[30:31]
	v_mov_b32_e32 v19, v14
	v_mov_b32_e32 v14, v13
	;; [unrolled: 1-line block ×6, first 2 shown]
	v_pk_fma_f32 v[42:43], v[16:17], 0.5, v[14:15] op_sel_hi:[1,0,1] neg_lo:[1,0,0] neg_hi:[1,0,0]
	ds_read2_b64 v[12:15], v10 offset0:96 offset1:152
	v_pk_add_f32 v[34:35], v[32:33], v[36:37]
	v_pk_fma_f32 v[34:35], v[34:35], 0.5, v[18:19] op_sel_hi:[1,0,1] neg_lo:[1,0,0] neg_hi:[1,0,0]
	ds_read2_b64 v[16:19], v75 offset1:56
	ds_read2_b64 v[28:31], v9 offset0:192 offset1:248
	v_mov_b32_e32 v110, v3
	s_waitcnt lgkmcnt(2)
	v_pk_mul_f32 v[48:49], v[14:15], v[4:5] op_sel:[0,1]
	v_pk_fma_f32 v[50:51], v[14:15], v[116:117], v[48:49] op_sel:[0,0,1] op_sel_hi:[1,1,0] neg_lo:[0,0,1] neg_hi:[0,0,1]
	v_pk_fma_f32 v[14:15], v[14:15], v[4:5], v[48:49] op_sel:[0,0,1] op_sel_hi:[1,0,0]
	v_mov_b32_e32 v51, v15
	s_waitcnt lgkmcnt(0)
	v_pk_mul_f32 v[14:15], v[30:31], v[114:115] op_sel_hi:[1,0]
	v_pk_fma_f32 v[48:49], v[30:31], v[6:7], v[14:15] op_sel:[0,0,1] op_sel_hi:[1,1,0] neg_lo:[0,0,1] neg_hi:[0,0,1]
	v_pk_fma_f32 v[14:15], v[30:31], v[6:7], v[14:15] op_sel:[0,0,1] op_sel_hi:[1,0,0]
	v_pk_mul_f32 v[30:31], v[12:13], v[0:1] op_sel:[0,1]
	v_pk_fma_f32 v[52:53], v[12:13], v[112:113], v[30:31] op_sel:[0,0,1] op_sel_hi:[1,1,0] neg_lo:[0,0,1] neg_hi:[0,0,1]
	v_pk_fma_f32 v[12:13], v[12:13], v[0:1], v[30:31] op_sel:[0,0,1] op_sel_hi:[1,0,0]
	v_mov_b32_e32 v53, v13
	v_pk_mul_f32 v[12:13], v[28:29], v[110:111] op_sel_hi:[1,0]
	v_pk_fma_f32 v[30:31], v[28:29], v[2:3], v[12:13] op_sel:[0,0,1] op_sel_hi:[1,1,0] neg_lo:[0,0,1] neg_hi:[0,0,1]
	v_pk_fma_f32 v[12:13], v[28:29], v[2:3], v[12:13] op_sel:[0,0,1] op_sel_hi:[1,0,0]
	v_mov_b32_e32 v31, v13
	v_pk_add_f32 v[28:29], v[52:53], v[30:31]
	v_pk_add_f32 v[12:13], v[16:17], v[52:53]
	v_pk_fma_f32 v[16:17], v[28:29], 0.5, v[16:17] op_sel_hi:[1,0,1] neg_lo:[1,0,0] neg_hi:[1,0,0]
	v_pk_add_f32 v[28:29], v[52:53], v[30:31] neg_lo:[0,1] neg_hi:[0,1]
	v_pk_mul_f32 v[28:29], v[28:29], s[0:1] op_sel_hi:[1,0]
	v_pk_add_f32 v[12:13], v[12:13], v[30:31]
	v_pk_add_f32 v[30:31], v[16:17], v[28:29] op_sel:[0,1] op_sel_hi:[1,0]
	v_pk_add_f32 v[16:17], v[16:17], v[28:29] op_sel:[0,1] op_sel_hi:[1,0] neg_lo:[0,1] neg_hi:[0,1]
	v_mov_b32_e32 v49, v15
	v_mov_b32_e32 v28, v30
	;; [unrolled: 1-line block ×4, first 2 shown]
	s_waitcnt lgkmcnt(0)
	; wave barrier
	ds_write2_b64 v188, v[12:13], v[28:29] offset1:32
	ds_write_b64 v188, v[16:17] offset:512
	v_pk_add_f32 v[12:13], v[50:51], v[48:49]
	v_pk_add_f32 v[16:17], v[50:51], v[48:49] neg_lo:[0,1] neg_hi:[0,1]
	v_pk_fma_f32 v[12:13], v[12:13], 0.5, v[18:19] op_sel_hi:[1,0,1] neg_lo:[1,0,0] neg_hi:[1,0,0]
	v_pk_mul_f32 v[16:17], v[16:17], s[0:1] op_sel_hi:[1,0]
	v_pk_add_f32 v[32:33], v[32:33], v[36:37] neg_lo:[0,1] neg_hi:[0,1]
	v_pk_add_f32 v[14:15], v[18:19], v[50:51]
	v_pk_add_f32 v[18:19], v[12:13], v[16:17] op_sel:[0,1] op_sel_hi:[1,0]
	v_pk_add_f32 v[12:13], v[12:13], v[16:17] op_sel:[0,1] op_sel_hi:[1,0] neg_lo:[0,1] neg_hi:[0,1]
	v_pk_mul_f32 v[46:47], v[32:33], s[0:1] op_sel_hi:[1,0]
	v_mov_b32_e32 v17, v13
	v_mov_b32_e32 v13, v19
	ds_write_b64 v186, v[12:13] offset:512
	v_mov_b32_e32 v3, v42
	v_mov_b32_e32 v12, v34
	;; [unrolled: 1-line block ×3, first 2 shown]
	v_pk_fma_f32 v[134:135], v[44:45], s[0:1], v[34:35] op_sel_hi:[1,0,1] neg_lo:[1,0,0] neg_hi:[1,0,0]
	v_pk_fma_f32 v[60:61], v[32:33], s[0:1], v[42:43] op_sel_hi:[1,0,1]
	v_pk_fma_f32 v[56:57], v[44:45], s[0:1], v[34:35] op_sel_hi:[1,0,1]
	v_pk_add_f32 v[12:13], v[2:3], v[12:13] neg_lo:[0,1] neg_hi:[0,1]
	v_pk_mul_f32 v[36:37], v[44:45], s[0:1] op_sel_hi:[1,0]
	v_pk_add_f32 v[14:15], v[14:15], v[48:49]
	v_mov_b32_e32 v16, v18
	v_mov_b32_e32 v57, v13
	;; [unrolled: 1-line block ×4, first 2 shown]
	v_lshrrev_b32_e32 v0, 5, v109
	ds_write2_b64 v186, v[14:15], v[16:17] offset1:32
	ds_write_b64 v187, v[12:13] offset:512
	v_mul_u32_u24_e32 v0, 0x60, v0
	v_mov_b32_e32 v12, v37
	v_mov_b32_e32 v13, v43
	v_mov_b32_e32 v46, v35
	v_or_b32_e32 v0, v0, v54
	v_pk_add_f32 v[136:137], v[12:13], v[46:47]
	v_pk_fma_f32 v[12:13], v[32:33], s[0:1], v[42:43] op_sel_hi:[1,0,1] neg_lo:[1,0,0] neg_hi:[1,0,0]
	v_lshlrev_b32_e32 v189, 3, v0
	v_mov_b32_e32 v137, v13
	v_mov_b32_e32 v12, v135
	;; [unrolled: 1-line block ×3, first 2 shown]
	ds_write2_b64 v187, v[38:39], v[56:57] offset1:32
	ds_write2_b64 v189, v[40:41], v[136:137] offset1:32
	ds_write_b64 v189, v[12:13] offset:512
	s_waitcnt lgkmcnt(0)
	; wave barrier
	s_waitcnt lgkmcnt(0)
	ds_read2_b64 v[44:47], v75 offset1:96
	ds_read2_b64 v[48:51], v10 offset0:64 offset1:160
	ds_read2_b64 v[52:55], v9 offset0:128 offset1:224
	ds_read_b64 v[132:133], v75 offset:4608
	v_cmp_gt_u16_e64 s[0:1], 40, v78
	s_and_saveexec_b64 s[6:7], s[2:3]
	s_xor_b64 s[6:7], exec, s[6:7]
; %bb.2:
	v_mov_b32_e32 v143, v136
; %bb.3:
	s_or_saveexec_b64 s[6:7], s[6:7]
                                        ; implicit-def: $vgpr42
	s_xor_b64 exec, exec, s[6:7]
	s_cbranch_execz .LBB0_5
; %bb.4:
	v_add_u32_e32 v0, 0xc00, v75
	ds_read2_b64 v[56:59], v75 offset0:56 offset1:152
	ds_read2_b64 v[60:63], v0 offset0:56 offset1:152
	v_add_u32_e32 v0, 0x400, v75
	ds_read_b64 v[142:143], v75 offset:5056
	ds_read2_b64 v[40:43], v0 offset0:120 offset1:216
	s_waitcnt lgkmcnt(3)
	v_mov_b32_e32 v134, v58
	s_waitcnt lgkmcnt(2)
	v_mov_b32_e32 v135, v60
	v_mov_b32_e32 v60, v59
	s_waitcnt lgkmcnt(1)
	v_mov_b32_e32 v136, v143
	s_waitcnt lgkmcnt(0)
	v_mov_b32_e32 v137, v43
	v_mov_b32_e32 v143, v42
	;; [unrolled: 1-line block ×3, first 2 shown]
.LBB0_5:
	s_or_b64 exec, exec, s[6:7]
	v_subrev_u32_e32 v0, 40, v78
	v_cndmask_b32_e64 v0, v0, v8, s[0:1]
	v_mul_hi_i32_i24_e32 v4, 48, v0
	v_mul_i32_i24_e32 v0, 48, v0
	v_mov_b32_e32 v3, s15
	v_add_co_u32_e32 v12, vcc, s14, v0
	v_mad_u64_u32 v[10:11], s[6:7], v78, 48, s[14:15]
	v_addc_co_u32_e32 v13, vcc, v3, v4, vcc
	global_load_dwordx4 v[32:35], v[10:11], off offset:768
	global_load_dwordx4 v[28:31], v[10:11], off offset:784
	;; [unrolled: 1-line block ×3, first 2 shown]
	s_nop 0
	global_load_dwordx4 v[8:11], v[12:13], off offset:752
	global_load_dwordx4 v[16:19], v[12:13], off offset:768
	s_nop 0
	global_load_dwordx4 v[12:15], v[12:13], off offset:784
	v_mov_b32_e32 v146, v134
	v_mov_b32_e32 v147, v143
	;; [unrolled: 1-line block ×4, first 2 shown]
	s_mov_b32 s20, 0x3d64c772
	s_mov_b32 s16, 0x3eae86e6
	;; [unrolled: 1-line block ×5, first 2 shown]
	s_waitcnt lgkmcnt(1)
	v_mov_b32_e32 v206, v53
	v_mov_b32_e32 v207, v55
	s_mov_b32 s6, 0x3f3bfb3b
	s_mov_b32 s7, 0x3f955555
	v_mov_b32_e32 v208, v52
	v_mov_b32_e32 v209, v54
	s_waitcnt lgkmcnt(0)
	v_mov_b32_e32 v210, v132
	v_mov_b32_e32 v211, v52
	s_mov_b32 s18, 0x3ee1c552
	s_mov_b32 s24, s21
	;; [unrolled: 1-line block ×4, first 2 shown]
	v_lshlrev_b32_e32 v193, 4, v107
	v_lshlrev_b32_e32 v192, 4, v109
	;; [unrolled: 1-line block ×4, first 2 shown]
	v_mov_b32_e32 v130, v92
	v_mov_b32_e32 v131, v92
	;; [unrolled: 1-line block ×31, first 2 shown]
	s_waitcnt vmcnt(5)
	v_mov_b32_e32 v63, v32
	s_waitcnt vmcnt(2)
	v_mov_b32_e32 v150, v9
	;; [unrolled: 2-line block ×3, first 2 shown]
	v_mov_b32_e32 v154, v9
	v_mov_b32_e32 v155, v17
	s_waitcnt vmcnt(0)
	v_mov_b32_e32 v158, v15
	v_mov_b32_e32 v159, v17
	;; [unrolled: 1-line block ×8, first 2 shown]
	v_pk_mul_f32 v[150:151], v[60:61], v[150:151]
	v_pk_mul_f32 v[146:147], v[146:147], v[154:155]
	;; [unrolled: 1-line block ×3, first 2 shown]
	v_mov_b32_e32 v137, v61
	v_pk_fma_f32 v[60:61], v[134:135], v[148:149], v[150:151] neg_lo:[0,0,1] neg_hi:[0,0,1]
	v_pk_fma_f32 v[144:145], v[144:145], v[152:153], v[146:147]
	v_pk_fma_f32 v[146:147], v[142:143], v[156:157], v[154:155] neg_lo:[0,0,1] neg_hi:[0,0,1]
	v_mov_b32_e32 v143, v135
	v_mov_b32_e32 v134, v15
	;; [unrolled: 1-line block ×4, first 2 shown]
	v_pk_mul_f32 v[134:135], v[142:143], v[134:135]
	v_pk_fma_f32 v[134:135], v[136:137], v[148:149], v[134:135]
	v_pk_add_f32 v[136:137], v[144:145], v[134:135]
	v_pk_add_f32 v[142:143], v[60:61], v[146:147] neg_lo:[0,1] neg_hi:[0,1]
	v_pk_add_f32 v[146:147], v[146:147], v[60:61]
	v_mov_b32_e32 v60, v144
	v_mov_b32_e32 v61, v135
	;; [unrolled: 1-line block ×3, first 2 shown]
	v_pk_add_f32 v[150:151], v[60:61], v[134:135] neg_lo:[0,1] neg_hi:[0,1]
	v_pk_mul_f32 v[60:61], v[40:41], v[10:11] op_sel:[1,0]
	v_mul_f32_e32 v43, v55, v29
	v_pk_fma_f32 v[134:135], v[40:41], v[10:11], v[60:61] op_sel:[0,0,1] op_sel_hi:[1,1,0] neg_lo:[0,0,1] neg_hi:[0,0,1]
	v_pk_fma_f32 v[40:41], v[40:41], v[10:11], v[60:61] op_sel:[0,0,1] op_sel_hi:[0,1,0]
	v_mov_b32_e32 v135, v41
	v_pk_mul_f32 v[40:41], v[42:43], v[12:13] op_sel_hi:[0,1]
	v_fma_f32 v201, v54, v28, -v43
	v_pk_fma_f32 v[42:43], v[62:63], v[12:13], v[40:41] op_sel:[0,0,1] op_sel_hi:[1,1,0] neg_lo:[0,0,1] neg_hi:[0,0,1]
	v_pk_fma_f32 v[40:41], v[62:63], v[12:13], v[40:41] op_sel:[0,0,1] op_sel_hi:[0,1,0]
	v_mov_b32_e32 v43, v41
	v_mul_f32_e32 v32, v49, v39
	v_pk_add_f32 v[152:153], v[134:135], v[42:43] neg_lo:[0,1] neg_hi:[0,1]
	v_pk_add_f32 v[42:43], v[134:135], v[42:43]
	v_mov_b32_e32 v41, v136
	v_fma_f32 v199, v48, v38, -v32
	v_pk_add_f32 v[40:41], v[42:43], v[40:41]
	v_mov_b32_e32 v32, v43
	v_sub_f32_e32 v139, v136, v137
	v_mov_b32_e32 v60, v143
	v_mov_b32_e32 v61, v152
	v_pk_add_f32 v[134:135], v[32:33], v[136:137] neg_lo:[0,1] neg_hi:[0,1]
	v_pk_add_f32 v[154:155], v[40:41], v[136:137]
	v_mov_b32_e32 v136, v147
	v_pk_add_f32 v[144:145], v[142:143], v[60:61] neg_lo:[0,1] neg_hi:[0,1]
	v_pk_add_f32 v[60:61], v[136:137], v[42:43] neg_lo:[0,1] neg_hi:[0,1]
	v_mov_b32_e32 v158, v150
	v_mov_b32_e32 v159, v142
	;; [unrolled: 1-line block ×3, first 2 shown]
	v_pk_mul_f32 v[60:61], v[60:61], s[20:21] op_sel_hi:[1,0]
	v_pk_add_f32 v[136:137], v[152:153], v[158:159] op_sel:[1,0] op_sel_hi:[0,1] neg_lo:[0,1] neg_hi:[0,1]
	v_pk_add_f32 v[142:143], v[142:143], v[152:153] op_sel:[0,1] op_sel_hi:[1,0]
	v_pk_mul_f32 v[40:41], v[144:145], s[16:17]
	v_mov_b32_e32 v157, v61
	v_pk_mul_f32 v[136:137], v[136:137], s[14:15] op_sel_hi:[1,0]
	v_pk_add_f32 v[142:143], v[142:143], v[158:159]
	v_pk_add_f32 v[158:159], v[42:43], v[146:147]
	v_add_f32_e32 v138, v199, v201
	v_mul_f32_e32 v148, 0xbf4a47b2, v139
	v_fmac_f32_e32 v157, 0x3f4a47b2, v139
	v_xor_b32_e32 v202, 0x80000000, v137
	v_mov_b32_e32 v203, v40
	v_mov_b32_e32 v152, v151
	;; [unrolled: 1-line block ×3, first 2 shown]
	v_pk_fma_f32 v[204:205], v[144:145], s[16:17], v[202:203] neg_lo:[1,0,0] neg_hi:[1,0,0]
	v_pk_fma_f32 v[144:145], v[144:145], s[16:17], v[202:203]
	v_pk_add_f32 v[202:203], v[150:151], v[152:153] neg_lo:[0,1] neg_hi:[0,1]
	v_pk_add_f32 v[152:153], v[42:43], v[146:147] neg_lo:[0,1] neg_hi:[0,1]
	v_pk_add_f32 v[42:43], v[138:139], v[146:147]
	v_mov_b32_e32 v58, v35
	v_mov_b32_e32 v59, v28
	v_mov_b32_e32 v154, v43
	v_mul_f32_e32 v196, v132, v31
	v_pk_add_f32 v[150:151], v[56:57], v[154:155]
	v_pk_mul_f32 v[206:207], v[206:207], v[58:59]
	v_fmac_f32_e32 v196, v133, v30
	v_mov_b32_e32 v135, v155
	v_mov_b32_e32 v149, v151
	v_pk_fma_f32 v[54:55], v[52:53], v[34:35], v[206:207] neg_lo:[0,0,1] neg_hi:[0,0,1]
	v_mov_b32_e32 v52, v133
	v_mov_b32_e32 v132, v31
	v_mov_b32_e32 v133, v34
	v_pk_fma_f32 v[56:57], v[134:135], s[6:7], v[148:149] neg_lo:[1,0,0] neg_hi:[1,0,0]
	v_pk_mul_f32 v[148:149], v[202:203], s[16:17]
	v_pk_mul_f32 v[52:53], v[52:53], v[132:133]
	v_mov_b32_e32 v132, v30
	v_mov_b32_e32 v133, v35
	;; [unrolled: 1-line block ×3, first 2 shown]
	v_pk_mul_f32 v[142:143], v[142:143], s[18:19] op_sel_hi:[1,0]
	v_mov_b32_e32 v156, v57
	v_mov_b32_e32 v139, v148
	v_pk_fma_f32 v[212:213], v[210:211], v[132:133], v[52:53] neg_lo:[0,0,1] neg_hi:[0,0,1]
	v_pk_fma_f32 v[132:133], v[210:211], v[132:133], v[52:53]
	v_mov_b32_e32 v210, v51
	v_mov_b32_e32 v211, v48
	;; [unrolled: 1-line block ×4, first 2 shown]
	v_pk_add_f32 v[144:145], v[142:143], v[204:205] op_sel:[1,0]
	v_pk_add_f32 v[154:155], v[56:57], v[156:157]
	v_pk_fma_f32 v[158:159], v[202:203], s[16:17], v[136:137] neg_lo:[1,0,1] neg_hi:[1,0,1]
	v_pk_fma_f32 v[156:157], v[202:203], s[16:17], v[138:139]
	v_mov_b32_e32 v202, v50
	v_mov_b32_e32 v203, v49
	;; [unrolled: 1-line block ×4, first 2 shown]
	v_pk_mul_f32 v[48:49], v[210:211], v[52:53]
	v_mul_f32_e32 v194, v46, v37
	v_pk_fma_f32 v[202:203], v[202:203], v[204:205], v[48:49]
	v_pk_fma_f32 v[204:205], v[50:51], v[204:205], v[48:49] neg_lo:[0,0,1] neg_hi:[0,0,1]
	v_mov_b32_e32 v49, v51
	v_mov_b32_e32 v51, v50
	;; [unrolled: 1-line block ×4, first 2 shown]
	v_fmac_f32_e32 v194, v47, v36
	v_mov_b32_e32 v48, v46
	v_mov_b32_e32 v62, v36
	v_pk_mul_f32 v[46:47], v[50:51], v[32:33]
	v_mov_b32_e32 v50, v34
	v_mov_b32_e32 v51, v29
	v_pk_fma_f32 v[210:211], v[48:49], v[62:63], v[46:47] neg_lo:[0,0,1] neg_hi:[0,0,1]
	v_pk_fma_f32 v[46:47], v[48:49], v[62:63], v[46:47]
	v_pk_fma_f32 v[206:207], v[208:209], v[50:51], v[206:207]
	v_mov_b32_e32 v205, v203
	v_mov_b32_e32 v211, v47
	v_mov_b32_e32 v55, v207
	v_mov_b32_e32 v213, v133
	v_mov_b32_e32 v195, v210
	v_mov_b32_e32 v197, v212
	v_mov_b32_e32 v198, v203
	v_mov_b32_e32 v200, v207
	v_add_f32_e32 v141, v194, v196
	v_sub_f32_e32 v140, v146, v147
	v_mov_b32_e32 v153, v43
	v_mov_b32_e32 v43, v60
	v_pk_add_f32 v[194:195], v[194:195], v[196:197] neg_lo:[0,1] neg_hi:[0,1]
	v_pk_add_f32 v[196:197], v[198:199], v[200:201] neg_lo:[0,1] neg_hi:[0,1]
	v_pk_add_f32 v[198:199], v[204:205], v[54:55]
	v_pk_add_f32 v[200:201], v[210:211], v[212:213]
	v_mov_b32_e32 v132, v133
	v_mov_b32_e32 v133, v54
	v_mov_b32_e32 v46, v47
	v_mov_b32_e32 v47, v204
	v_fmac_f32_e32 v43, 0x3f4a47b2, v140
	v_mul_f32_e32 v146, 0xbf4a47b2, v140
	v_pk_add_f32 v[46:47], v[132:133], v[46:47] neg_lo:[0,1] neg_hi:[0,1]
	v_mov_b32_e32 v140, v198
	v_mov_b32_e32 v139, v201
	v_add_f32_e32 v54, v138, v200
	v_add_f32_e32 v133, v199, v141
	v_pk_add_f32 v[202:203], v[140:141], v[138:139] neg_lo:[0,1] neg_hi:[0,1]
	v_mov_b32_e32 v208, v46
	v_mov_b32_e32 v209, v195
	;; [unrolled: 1-line block ×6, first 2 shown]
	v_pk_add_f32 v[206:207], v[46:47], v[196:197]
	v_pk_add_f32 v[208:209], v[208:209], v[210:211] neg_lo:[0,1] neg_hi:[0,1]
	v_mov_b32_e32 v210, v194
	v_mov_b32_e32 v47, v197
	v_pk_add_f32 v[54:55], v[54:55], v[132:133]
	v_pk_mul_f32 v[202:203], v[202:203], s[20:21]
	s_mov_b32 s20, s17
	s_mov_b32 s21, s16
	v_pk_add_f32 v[204:205], v[200:201], v[198:199] neg_lo:[0,1] neg_hi:[0,1]
	v_pk_add_f32 v[46:47], v[210:211], v[46:47] neg_lo:[0,1] neg_hi:[0,1]
	v_pk_add_f32 v[132:133], v[206:207], v[194:195]
	v_pk_add_f32 v[44:45], v[44:45], v[54:55]
	v_pk_mul_f32 v[206:207], v[208:209], s[20:21]
	v_pk_fma_f32 v[208:209], v[54:55], s[22:23], v[44:45] op_sel_hi:[1,0,1]
	v_pk_fma_f32 v[54:55], v[204:205], s[24:25], v[202:203]
	v_pk_fma_f32 v[210:211], v[46:47], s[16:17], v[206:207]
	v_pk_add_f32 v[54:55], v[54:55], v[208:209]
	v_pk_fma_f32 v[210:211], v[132:133], s[18:19], v[210:211] op_sel_hi:[1,0,1]
	v_pk_add_f32 v[212:213], v[54:55], v[210:211] neg_lo:[0,1] neg_hi:[0,1]
	v_pk_add_f32 v[210:211], v[54:55], v[210:211]
	v_mov_b32_e32 v54, v210
	v_mov_b32_e32 v55, v213
	ds_write2_b64 v75, v[44:45], v[54:55] offset1:96
	v_pk_mul_f32 v[44:45], v[204:205], s[24:25]
	v_pk_mul_f32 v[46:47], v[46:47], s[16:17]
	v_mov_b32_e32 v139, v199
	v_mov_b32_e32 v201, v141
	;; [unrolled: 1-line block ×3, first 2 shown]
	v_pk_add_f32 v[138:139], v[138:139], v[200:201] neg_lo:[0,1] neg_hi:[0,1]
	v_pk_add_f32 v[140:141], v[196:197], v[194:195] neg_lo:[0,1] neg_hi:[0,1]
	v_mov_b32_e32 v194, v202
	v_mov_b32_e32 v195, v45
	v_mov_b32_e32 v196, v206
	v_mov_b32_e32 v197, v47
	v_mov_b32_e32 v45, v203
	v_mov_b32_e32 v47, v207
	v_pk_fma_f32 v[146:147], v[152:153], s[6:7], v[146:147] neg_lo:[1,0,0] neg_hi:[1,0,0]
	v_pk_fma_f32 v[194:195], v[138:139], s[6:7], v[194:195] op_sel_hi:[1,0,1] neg_lo:[0,0,1] neg_hi:[0,0,1]
	v_pk_fma_f32 v[196:197], v[140:141], s[14:15], v[196:197] op_sel_hi:[1,0,1] neg_lo:[0,0,1] neg_hi:[0,0,1]
	;; [unrolled: 1-line block ×4, first 2 shown]
	v_mov_b32_e32 v159, v157
	v_mov_b32_e32 v42, v147
	v_pk_add_f32 v[194:195], v[194:195], v[208:209]
	v_pk_fma_f32 v[196:197], v[132:133], s[18:19], v[196:197] op_sel_hi:[1,0,1]
	v_pk_add_f32 v[44:45], v[44:45], v[208:209]
	v_pk_fma_f32 v[46:47], v[132:133], s[18:19], v[46:47] op_sel_hi:[1,0,1]
	v_pk_add_f32 v[156:157], v[146:147], v[42:43]
	v_pk_add_f32 v[158:159], v[142:143], v[158:159] op_sel_hi:[0,1]
	v_pk_add_f32 v[198:199], v[194:195], v[196:197] neg_lo:[0,1] neg_hi:[0,1]
	v_pk_add_f32 v[194:195], v[194:195], v[196:197]
	v_pk_add_f32 v[132:133], v[44:45], v[46:47] neg_lo:[0,1] neg_hi:[0,1]
	v_pk_add_f32 v[44:45], v[44:45], v[46:47]
	;; [unrolled: 2-line block ×3, first 2 shown]
	v_mov_b32_e32 v54, v31
	v_mov_b32_e32 v196, v198
	;; [unrolled: 1-line block ×6, first 2 shown]
	v_add_u32_e32 v35, 0x400, v75
	v_mov_b32_e32 v133, v45
	v_add_u32_e32 v55, 0x800, v75
	v_mov_b32_e32 v213, v211
	ds_write2_b64 v35, v[46:47], v[196:197] offset0:64 offset1:160
	ds_write2_b64 v55, v[194:195], v[132:133] offset0:128 offset1:224
	ds_write_b64 v75, v[212:213] offset:4608
	s_and_saveexec_b64 s[14:15], s[0:1]
	s_cbranch_execz .LBB0_7
; %bb.6:
	v_mov_b32_e32 v40, v159
	v_mov_b32_e32 v56, v157
	v_pk_mul_f32 v[44:45], v[134:135], s[6:7]
	v_pk_add_f32 v[132:133], v[40:41], v[56:57]
	v_pk_add_f32 v[134:135], v[154:155], v[144:145] neg_lo:[0,1] neg_hi:[0,1]
	v_pk_mul_f32 v[46:47], v[152:153], s[6:7]
	v_mov_b32_e32 v133, v135
	ds_write2_b64 v75, v[150:151], v[132:133] offset0:56 offset1:152
	v_mov_b32_e32 v45, v154
	v_mov_b32_e32 v132, v156
	v_mov_b32_e32 v133, v144
	v_mov_b32_e32 v40, v149
	v_mov_b32_e32 v47, v44
	v_pk_add_f32 v[132:133], v[44:45], v[132:133] neg_lo:[0,1] neg_hi:[0,1]
	v_pk_add_f32 v[40:41], v[136:137], v[40:41] neg_lo:[0,1] neg_hi:[0,1]
	;; [unrolled: 1-line block ×3, first 2 shown]
	v_mov_b32_e32 v56, v147
	v_pk_add_f32 v[40:41], v[142:143], v[40:41]
	v_pk_add_f32 v[44:45], v[44:45], v[56:57]
	;; [unrolled: 1-line block ×3, first 2 shown]
	v_pk_add_f32 v[46:47], v[44:45], v[40:41] neg_lo:[0,1] neg_hi:[0,1]
	v_pk_add_f32 v[40:41], v[44:45], v[40:41]
	v_mov_b32_e32 v135, v133
	v_mov_b32_e32 v44, v46
	v_mov_b32_e32 v45, v41
	ds_write2_b64 v35, v[134:135], v[44:45] offset0:120 offset1:216
	v_mov_b32_e32 v41, v47
	v_mov_b32_e32 v44, v42
	v_mov_b32_e32 v45, v48
	v_add_u32_e32 v46, 0xc00, v75
	ds_write2_b64 v46, v[40:41], v[44:45] offset0:56 offset1:152
	v_mov_b32_e32 v40, v43
	v_mov_b32_e32 v41, v49
	ds_write_b64 v75, v[40:41] offset:5056
.LBB0_7:
	s_or_b64 exec, exec, s[14:15]
	v_lshlrev_b32_e32 v40, 3, v78
	v_mov_b32_e32 v41, s13
	v_add_co_u32_e32 v46, vcc, s12, v40
	v_addc_co_u32_e32 v47, vcc, 0, v41, vcc
	v_add_co_u32_e32 v40, vcc, 0x1500, v46
	v_addc_co_u32_e32 v41, vcc, 0, v47, vcc
	s_waitcnt lgkmcnt(0)
	; wave barrier
	s_waitcnt lgkmcnt(0)
	global_load_dwordx2 v[56:57], v[40:41], off offset:448
	v_add_co_u32_e32 v44, vcc, 0x1000, v46
	v_addc_co_u32_e32 v45, vcc, 0, v47, vcc
	global_load_dwordx2 v[60:61], v[44:45], off offset:1280
	global_load_dwordx2 v[148:149], v[40:41], off offset:2688
	;; [unrolled: 1-line block ×6, first 2 shown]
	s_movk_i32 s6, 0x2000
	v_add_co_u32_e32 v44, vcc, s6, v46
	v_addc_co_u32_e32 v45, vcc, 0, v47, vcc
	global_load_dwordx2 v[158:159], v[44:45], off offset:1664
	global_load_dwordx2 v[194:195], v[44:45], off offset:2112
	;; [unrolled: 1-line block ×4, first 2 shown]
	s_nop 0
	global_load_dwordx2 v[40:41], v[40:41], off offset:2240
	ds_read2_b64 v[44:47], v75 offset1:56
	v_add_u32_e32 v202, 0x1000, v75
	v_add_u32_e32 v203, 0xc00, v75
	s_mov_b32 s6, 0x3f5db3d7
	s_waitcnt vmcnt(10) lgkmcnt(0)
	v_mul_f32_e32 v133, v45, v61
	v_mul_f32_e32 v132, v47, v57
	;; [unrolled: 1-line block ×4, first 2 shown]
	v_fma_f32 v200, v46, v56, -v132
	v_fmac_f32_e32 v201, v47, v56
	v_fma_f32 v56, v44, v60, -v133
	v_fmac_f32_e32 v57, v45, v60
	ds_write_b64 v75, v[56:57]
	ds_read2_b64 v[44:47], v55 offset0:80 offset1:136
	ds_read2_b64 v[132:135], v75 offset0:112 offset1:168
	;; [unrolled: 1-line block ×5, first 2 shown]
	s_waitcnt vmcnt(9) lgkmcnt(4)
	v_mul_f32_e32 v56, v45, v149
	v_mul_f32_e32 v57, v44, v149
	s_waitcnt vmcnt(8)
	v_mul_f32_e32 v60, v47, v151
	v_mul_f32_e32 v61, v46, v151
	s_waitcnt vmcnt(6) lgkmcnt(3)
	v_mul_f32_e32 v204, v133, v155
	v_mul_f32_e32 v149, v132, v155
	s_waitcnt lgkmcnt(2)
	v_mul_f32_e32 v205, v137, v153
	v_mul_f32_e32 v151, v136, v153
	s_waitcnt vmcnt(5)
	v_mul_f32_e32 v206, v135, v157
	v_mul_f32_e32 v153, v134, v157
	s_waitcnt vmcnt(2)
	v_mul_f32_e32 v207, v139, v197
	v_mul_f32_e32 v155, v138, v197
	s_waitcnt vmcnt(1) lgkmcnt(1)
	v_mul_f32_e32 v208, v141, v199
	v_mul_f32_e32 v157, v140, v199
	s_waitcnt lgkmcnt(0)
	v_mul_f32_e32 v199, v145, v159
	v_mul_f32_e32 v197, v144, v159
	s_waitcnt vmcnt(0)
	v_mul_f32_e32 v209, v143, v41
	v_mul_f32_e32 v159, v142, v41
	;; [unrolled: 1-line block ×4, first 2 shown]
	v_fma_f32 v56, v44, v148, -v56
	v_fmac_f32_e32 v57, v45, v148
	v_fma_f32 v148, v132, v154, -v204
	v_fmac_f32_e32 v149, v133, v154
	;; [unrolled: 2-line block ×10, first 2 shown]
	ds_write2_b64 v75, v[200:201], v[148:149] offset0:56 offset1:112
	ds_write2_b64 v55, v[60:61], v[150:151] offset0:136 offset1:192
	;; [unrolled: 1-line block ×5, first 2 shown]
	ds_write_b64 v75, v[40:41] offset:4928
	s_waitcnt lgkmcnt(0)
	; wave barrier
	s_waitcnt lgkmcnt(0)
	ds_read2_b64 v[44:47], v75 offset1:56
	ds_read2_b64 v[132:135], v55 offset0:80 offset1:136
	ds_read2_b64 v[140:143], v75 offset0:112 offset1:168
	;; [unrolled: 1-line block ×3, first 2 shown]
	s_waitcnt lgkmcnt(2)
	v_pk_add_f32 v[138:139], v[44:45], v[132:133] neg_lo:[0,1] neg_hi:[0,1]
	v_pk_add_f32 v[134:135], v[46:47], v[134:135] neg_lo:[0,1] neg_hi:[0,1]
	v_pk_fma_f32 v[136:137], v[44:45], 2.0, v[138:139] op_sel_hi:[1,0,1] neg_lo:[0,0,1] neg_hi:[0,0,1]
	v_pk_fma_f32 v[132:133], v[46:47], 2.0, v[134:135] op_sel_hi:[1,0,1] neg_lo:[0,0,1] neg_hi:[0,0,1]
	ds_read2_b64 v[44:47], v35 offset0:96 offset1:152
	ds_read2_b64 v[148:151], v202 offset0:48 offset1:104
	s_waitcnt lgkmcnt(2)
	v_pk_add_f32 v[154:155], v[140:141], v[144:145] neg_lo:[0,1] neg_hi:[0,1]
	v_pk_add_f32 v[144:145], v[142:143], v[146:147] neg_lo:[0,1] neg_hi:[0,1]
	v_pk_fma_f32 v[152:153], v[140:141], 2.0, v[154:155] op_sel_hi:[1,0,1] neg_lo:[0,0,1] neg_hi:[0,0,1]
	v_pk_fma_f32 v[142:143], v[142:143], 2.0, v[144:145] op_sel_hi:[1,0,1] neg_lo:[0,0,1] neg_hi:[0,0,1]
	s_waitcnt lgkmcnt(0)
	v_pk_add_f32 v[148:149], v[44:45], v[148:149] neg_lo:[0,1] neg_hi:[0,1]
	v_pk_add_f32 v[158:159], v[46:47], v[150:151] neg_lo:[0,1] neg_hi:[0,1]
	v_pk_fma_f32 v[146:147], v[44:45], 2.0, v[148:149] op_sel_hi:[1,0,1] neg_lo:[0,0,1] neg_hi:[0,0,1]
	v_pk_fma_f32 v[156:157], v[46:47], 2.0, v[158:159] op_sel_hi:[1,0,1] neg_lo:[0,0,1] neg_hi:[0,0,1]
	s_waitcnt lgkmcnt(0)
	; wave barrier
	ds_write_b128 v160, v[136:139]
	ds_write_b128 v161, v[132:135]
	;; [unrolled: 1-line block ×6, first 2 shown]
	s_waitcnt lgkmcnt(0)
	; wave barrier
	s_waitcnt lgkmcnt(0)
	ds_read2_b64 v[44:47], v202 offset0:48 offset1:104
	ds_read2_b64 v[132:135], v35 offset0:96 offset1:152
	s_waitcnt lgkmcnt(1)
	v_pk_mul_f32 v[40:41], v[92:93], v[46:47]
	v_pk_fma_f32 v[56:57], v[130:131], v[46:47], v[40:41] op_sel:[0,0,1] op_sel_hi:[1,1,0]
	v_pk_fma_f32 v[40:41], v[130:131], v[46:47], v[40:41] op_sel:[0,0,1] op_sel_hi:[1,1,0] neg_lo:[0,0,1] neg_hi:[0,0,1]
	v_mov_b32_e32 v57, v41
	s_waitcnt lgkmcnt(0)
	v_pk_add_f32 v[40:41], v[134:135], v[56:57] neg_lo:[0,1] neg_hi:[0,1]
	v_pk_mul_f32 v[46:47], v[92:93], v[44:45]
	v_pk_fma_f32 v[56:57], v[134:135], 2.0, v[40:41] op_sel_hi:[1,0,1] neg_lo:[0,0,1] neg_hi:[0,0,1]
	v_pk_fma_f32 v[60:61], v[130:131], v[44:45], v[46:47] op_sel:[0,0,1] op_sel_hi:[1,1,0]
	v_pk_fma_f32 v[134:135], v[130:131], v[44:45], v[46:47] op_sel:[0,0,1] op_sel_hi:[1,1,0] neg_lo:[0,0,1] neg_hi:[0,0,1]
	ds_read2_b64 v[44:47], v55 offset0:192 offset1:248
	v_mov_b32_e32 v61, v135
	v_pk_add_f32 v[60:61], v[132:133], v[60:61] neg_lo:[0,1] neg_hi:[0,1]
	v_pk_fma_f32 v[136:137], v[132:133], 2.0, v[60:61] op_sel_hi:[1,0,1] neg_lo:[0,0,1] neg_hi:[0,0,1]
	ds_read2_b64 v[132:135], v75 offset0:112 offset1:168
	s_waitcnt lgkmcnt(1)
	v_pk_mul_f32 v[138:139], v[92:93], v[46:47]
	v_pk_fma_f32 v[140:141], v[130:131], v[46:47], v[138:139] op_sel:[0,0,1] op_sel_hi:[1,1,0]
	v_pk_fma_f32 v[46:47], v[130:131], v[46:47], v[138:139] op_sel:[0,0,1] op_sel_hi:[1,1,0] neg_lo:[0,0,1] neg_hi:[0,0,1]
	v_mov_b32_e32 v141, v47
	s_waitcnt lgkmcnt(0)
	v_pk_add_f32 v[138:139], v[134:135], v[140:141] neg_lo:[0,1] neg_hi:[0,1]
	v_pk_mul_f32 v[46:47], v[92:93], v[44:45]
	v_pk_fma_f32 v[140:141], v[134:135], 2.0, v[138:139] op_sel_hi:[1,0,1] neg_lo:[0,0,1] neg_hi:[0,0,1]
	v_pk_fma_f32 v[134:135], v[130:131], v[44:45], v[46:47] op_sel:[0,0,1] op_sel_hi:[1,1,0]
	v_pk_fma_f32 v[142:143], v[130:131], v[44:45], v[46:47] op_sel:[0,0,1] op_sel_hi:[1,1,0] neg_lo:[0,0,1] neg_hi:[0,0,1]
	ds_read2_b64 v[44:47], v55 offset0:80 offset1:136
	v_mov_b32_e32 v135, v143
	v_pk_add_f32 v[142:143], v[132:133], v[134:135] neg_lo:[0,1] neg_hi:[0,1]
	v_pk_fma_f32 v[144:145], v[132:133], 2.0, v[142:143] op_sel_hi:[1,0,1] neg_lo:[0,0,1] neg_hi:[0,0,1]
	ds_read2_b64 v[132:135], v75 offset1:56
	s_waitcnt lgkmcnt(1)
	v_pk_mul_f32 v[146:147], v[92:93], v[46:47]
	v_pk_mul_f32 v[92:93], v[92:93], v[44:45]
	v_pk_fma_f32 v[148:149], v[130:131], v[46:47], v[146:147] op_sel:[0,0,1] op_sel_hi:[1,1,0]
	v_pk_fma_f32 v[46:47], v[130:131], v[46:47], v[146:147] op_sel:[0,0,1] op_sel_hi:[1,1,0] neg_lo:[0,0,1] neg_hi:[0,0,1]
	v_pk_fma_f32 v[146:147], v[130:131], v[44:45], v[92:93] op_sel:[0,0,1] op_sel_hi:[1,1,0]
	v_pk_fma_f32 v[44:45], v[130:131], v[44:45], v[92:93] op_sel:[0,0,1] op_sel_hi:[1,1,0] neg_lo:[0,0,1] neg_hi:[0,0,1]
	v_mov_b32_e32 v147, v45
	v_mov_b32_e32 v149, v47
	s_waitcnt lgkmcnt(0)
	v_pk_add_f32 v[44:45], v[132:133], v[146:147] neg_lo:[0,1] neg_hi:[0,1]
	v_pk_add_f32 v[46:47], v[134:135], v[148:149] neg_lo:[0,1] neg_hi:[0,1]
	v_pk_fma_f32 v[92:93], v[132:133], 2.0, v[44:45] op_sel_hi:[1,0,1] neg_lo:[0,0,1] neg_hi:[0,0,1]
	v_pk_fma_f32 v[134:135], v[134:135], 2.0, v[46:47] op_sel_hi:[1,0,1] neg_lo:[0,0,1] neg_hi:[0,0,1]
	s_waitcnt lgkmcnt(0)
	; wave barrier
	ds_write2_b64 v162, v[92:93], v[44:45] offset1:2
	ds_write2_b64 v163, v[134:135], v[46:47] offset1:2
	;; [unrolled: 1-line block ×6, first 2 shown]
	s_waitcnt lgkmcnt(0)
	; wave barrier
	s_waitcnt lgkmcnt(0)
	ds_read2_b64 v[44:47], v202 offset0:48 offset1:104
	ds_read2_b64 v[130:133], v35 offset0:96 offset1:152
	s_waitcnt lgkmcnt(1)
	v_pk_mul_f32 v[40:41], v[94:95], v[46:47]
	v_pk_fma_f32 v[56:57], v[128:129], v[46:47], v[40:41] op_sel:[0,0,1] op_sel_hi:[1,1,0]
	v_pk_fma_f32 v[40:41], v[128:129], v[46:47], v[40:41] op_sel:[0,0,1] op_sel_hi:[1,1,0] neg_lo:[0,0,1] neg_hi:[0,0,1]
	v_pk_mul_f32 v[46:47], v[94:95], v[44:45]
	v_pk_fma_f32 v[60:61], v[128:129], v[44:45], v[46:47] op_sel:[0,0,1] op_sel_hi:[1,1,0]
	v_pk_fma_f32 v[92:93], v[128:129], v[44:45], v[46:47] op_sel:[0,0,1] op_sel_hi:[1,1,0] neg_lo:[0,0,1] neg_hi:[0,0,1]
	ds_read2_b64 v[44:47], v55 offset0:192 offset1:248
	v_mov_b32_e32 v57, v41
	v_mov_b32_e32 v61, v93
	s_waitcnt lgkmcnt(1)
	v_pk_add_f32 v[40:41], v[132:133], v[56:57] neg_lo:[0,1] neg_hi:[0,1]
	v_pk_add_f32 v[60:61], v[130:131], v[60:61] neg_lo:[0,1] neg_hi:[0,1]
	v_pk_fma_f32 v[56:57], v[132:133], 2.0, v[40:41] op_sel_hi:[1,0,1] neg_lo:[0,0,1] neg_hi:[0,0,1]
	v_pk_fma_f32 v[92:93], v[130:131], 2.0, v[60:61] op_sel_hi:[1,0,1] neg_lo:[0,0,1] neg_hi:[0,0,1]
	ds_read2_b64 v[130:133], v75 offset0:112 offset1:168
	s_waitcnt lgkmcnt(1)
	v_pk_mul_f32 v[134:135], v[94:95], v[46:47]
	v_pk_fma_f32 v[136:137], v[128:129], v[46:47], v[134:135] op_sel:[0,0,1] op_sel_hi:[1,1,0]
	v_pk_fma_f32 v[46:47], v[128:129], v[46:47], v[134:135] op_sel:[0,0,1] op_sel_hi:[1,1,0] neg_lo:[0,0,1] neg_hi:[0,0,1]
	v_mov_b32_e32 v137, v47
	s_waitcnt lgkmcnt(0)
	v_pk_add_f32 v[134:135], v[132:133], v[136:137] neg_lo:[0,1] neg_hi:[0,1]
	v_pk_mul_f32 v[46:47], v[94:95], v[44:45]
	v_pk_fma_f32 v[136:137], v[132:133], 2.0, v[134:135] op_sel_hi:[1,0,1] neg_lo:[0,0,1] neg_hi:[0,0,1]
	v_pk_fma_f32 v[132:133], v[128:129], v[44:45], v[46:47] op_sel:[0,0,1] op_sel_hi:[1,1,0]
	v_pk_fma_f32 v[138:139], v[128:129], v[44:45], v[46:47] op_sel:[0,0,1] op_sel_hi:[1,1,0] neg_lo:[0,0,1] neg_hi:[0,0,1]
	ds_read2_b64 v[44:47], v55 offset0:80 offset1:136
	v_mov_b32_e32 v133, v139
	v_pk_add_f32 v[138:139], v[130:131], v[132:133] neg_lo:[0,1] neg_hi:[0,1]
	v_pk_fma_f32 v[140:141], v[130:131], 2.0, v[138:139] op_sel_hi:[1,0,1] neg_lo:[0,0,1] neg_hi:[0,0,1]
	ds_read2_b64 v[130:133], v75 offset1:56
	s_waitcnt lgkmcnt(1)
	v_pk_mul_f32 v[142:143], v[94:95], v[46:47]
	v_pk_mul_f32 v[94:95], v[94:95], v[44:45]
	v_pk_fma_f32 v[144:145], v[128:129], v[46:47], v[142:143] op_sel:[0,0,1] op_sel_hi:[1,1,0]
	v_pk_fma_f32 v[46:47], v[128:129], v[46:47], v[142:143] op_sel:[0,0,1] op_sel_hi:[1,1,0] neg_lo:[0,0,1] neg_hi:[0,0,1]
	v_pk_fma_f32 v[142:143], v[128:129], v[44:45], v[94:95] op_sel:[0,0,1] op_sel_hi:[1,1,0]
	v_pk_fma_f32 v[44:45], v[128:129], v[44:45], v[94:95] op_sel:[0,0,1] op_sel_hi:[1,1,0] neg_lo:[0,0,1] neg_hi:[0,0,1]
	v_mov_b32_e32 v143, v45
	v_mov_b32_e32 v145, v47
	s_waitcnt lgkmcnt(0)
	v_pk_add_f32 v[44:45], v[130:131], v[142:143] neg_lo:[0,1] neg_hi:[0,1]
	v_pk_add_f32 v[46:47], v[132:133], v[144:145] neg_lo:[0,1] neg_hi:[0,1]
	v_pk_fma_f32 v[94:95], v[130:131], 2.0, v[44:45] op_sel_hi:[1,0,1] neg_lo:[0,0,1] neg_hi:[0,0,1]
	v_pk_fma_f32 v[132:133], v[132:133], 2.0, v[46:47] op_sel_hi:[1,0,1] neg_lo:[0,0,1] neg_hi:[0,0,1]
	s_waitcnt lgkmcnt(0)
	; wave barrier
	ds_write2_b64 v168, v[94:95], v[44:45] offset1:4
	ds_write2_b64 v169, v[132:133], v[46:47] offset1:4
	;; [unrolled: 1-line block ×6, first 2 shown]
	s_waitcnt lgkmcnt(0)
	; wave barrier
	s_waitcnt lgkmcnt(0)
	ds_read2_b64 v[44:47], v202 offset0:48 offset1:104
	ds_read2_b64 v[92:95], v35 offset0:96 offset1:152
	s_waitcnt lgkmcnt(1)
	v_pk_mul_f32 v[40:41], v[96:97], v[46:47]
	v_pk_fma_f32 v[56:57], v[126:127], v[46:47], v[40:41] op_sel:[0,0,1] op_sel_hi:[1,1,0]
	v_pk_fma_f32 v[40:41], v[126:127], v[46:47], v[40:41] op_sel:[0,0,1] op_sel_hi:[1,1,0] neg_lo:[0,0,1] neg_hi:[0,0,1]
	v_mov_b32_e32 v57, v41
	s_waitcnt lgkmcnt(0)
	v_pk_add_f32 v[40:41], v[94:95], v[56:57] neg_lo:[0,1] neg_hi:[0,1]
	v_pk_mul_f32 v[46:47], v[96:97], v[44:45]
	v_pk_fma_f32 v[56:57], v[94:95], 2.0, v[40:41] op_sel_hi:[1,0,1] neg_lo:[0,0,1] neg_hi:[0,0,1]
	v_pk_fma_f32 v[60:61], v[126:127], v[44:45], v[46:47] op_sel:[0,0,1] op_sel_hi:[1,1,0]
	v_pk_fma_f32 v[94:95], v[126:127], v[44:45], v[46:47] op_sel:[0,0,1] op_sel_hi:[1,1,0] neg_lo:[0,0,1] neg_hi:[0,0,1]
	ds_read2_b64 v[44:47], v55 offset0:192 offset1:248
	v_mov_b32_e32 v61, v95
	v_pk_add_f32 v[60:61], v[92:93], v[60:61] neg_lo:[0,1] neg_hi:[0,1]
	v_pk_fma_f32 v[128:129], v[92:93], 2.0, v[60:61] op_sel_hi:[1,0,1] neg_lo:[0,0,1] neg_hi:[0,0,1]
	ds_read2_b64 v[92:95], v75 offset0:112 offset1:168
	s_waitcnt lgkmcnt(1)
	v_pk_mul_f32 v[130:131], v[96:97], v[46:47]
	v_pk_fma_f32 v[132:133], v[126:127], v[46:47], v[130:131] op_sel:[0,0,1] op_sel_hi:[1,1,0]
	v_pk_fma_f32 v[46:47], v[126:127], v[46:47], v[130:131] op_sel:[0,0,1] op_sel_hi:[1,1,0] neg_lo:[0,0,1] neg_hi:[0,0,1]
	v_mov_b32_e32 v133, v47
	s_waitcnt lgkmcnt(0)
	v_pk_add_f32 v[130:131], v[94:95], v[132:133] neg_lo:[0,1] neg_hi:[0,1]
	v_pk_mul_f32 v[46:47], v[96:97], v[44:45]
	v_pk_fma_f32 v[132:133], v[94:95], 2.0, v[130:131] op_sel_hi:[1,0,1] neg_lo:[0,0,1] neg_hi:[0,0,1]
	v_pk_fma_f32 v[94:95], v[126:127], v[44:45], v[46:47] op_sel:[0,0,1] op_sel_hi:[1,1,0]
	v_pk_fma_f32 v[134:135], v[126:127], v[44:45], v[46:47] op_sel:[0,0,1] op_sel_hi:[1,1,0] neg_lo:[0,0,1] neg_hi:[0,0,1]
	ds_read2_b64 v[44:47], v55 offset0:80 offset1:136
	v_mov_b32_e32 v95, v135
	v_pk_add_f32 v[134:135], v[92:93], v[94:95] neg_lo:[0,1] neg_hi:[0,1]
	v_pk_fma_f32 v[136:137], v[92:93], 2.0, v[134:135] op_sel_hi:[1,0,1] neg_lo:[0,0,1] neg_hi:[0,0,1]
	ds_read2_b64 v[92:95], v75 offset1:56
	s_waitcnt lgkmcnt(1)
	v_pk_mul_f32 v[138:139], v[96:97], v[46:47]
	v_pk_mul_f32 v[96:97], v[96:97], v[44:45]
	v_pk_fma_f32 v[140:141], v[126:127], v[46:47], v[138:139] op_sel:[0,0,1] op_sel_hi:[1,1,0]
	v_pk_fma_f32 v[46:47], v[126:127], v[46:47], v[138:139] op_sel:[0,0,1] op_sel_hi:[1,1,0] neg_lo:[0,0,1] neg_hi:[0,0,1]
	v_pk_fma_f32 v[138:139], v[126:127], v[44:45], v[96:97] op_sel:[0,0,1] op_sel_hi:[1,1,0]
	v_pk_fma_f32 v[44:45], v[126:127], v[44:45], v[96:97] op_sel:[0,0,1] op_sel_hi:[1,1,0] neg_lo:[0,0,1] neg_hi:[0,0,1]
	v_mov_b32_e32 v141, v47
	v_mov_b32_e32 v139, v45
	s_waitcnt lgkmcnt(0)
	v_pk_add_f32 v[46:47], v[94:95], v[140:141] neg_lo:[0,1] neg_hi:[0,1]
	v_pk_add_f32 v[44:45], v[92:93], v[138:139] neg_lo:[0,1] neg_hi:[0,1]
	v_pk_fma_f32 v[94:95], v[94:95], 2.0, v[46:47] op_sel_hi:[1,0,1] neg_lo:[0,0,1] neg_hi:[0,0,1]
	v_pk_fma_f32 v[92:93], v[92:93], 2.0, v[44:45] op_sel_hi:[1,0,1] neg_lo:[0,0,1] neg_hi:[0,0,1]
	s_waitcnt lgkmcnt(0)
	; wave barrier
	ds_write2_b64 v174, v[92:93], v[44:45] offset1:8
	ds_write2_b64 v175, v[94:95], v[46:47] offset1:8
	;; [unrolled: 1-line block ×6, first 2 shown]
	s_waitcnt lgkmcnt(0)
	; wave barrier
	s_waitcnt lgkmcnt(0)
	ds_read2_b64 v[44:47], v202 offset0:48 offset1:104
	ds_read2_b64 v[92:95], v35 offset0:96 offset1:152
	s_waitcnt lgkmcnt(1)
	v_pk_mul_f32 v[40:41], v[106:107], v[46:47]
	v_pk_fma_f32 v[56:57], v[124:125], v[46:47], v[40:41] op_sel:[0,0,1] op_sel_hi:[1,1,0]
	v_pk_fma_f32 v[40:41], v[124:125], v[46:47], v[40:41] op_sel:[0,0,1] op_sel_hi:[1,1,0] neg_lo:[0,0,1] neg_hi:[0,0,1]
	v_mov_b32_e32 v57, v41
	s_waitcnt lgkmcnt(0)
	v_pk_add_f32 v[40:41], v[94:95], v[56:57] neg_lo:[0,1] neg_hi:[0,1]
	v_pk_mul_f32 v[46:47], v[98:99], v[44:45]
	v_pk_fma_f32 v[56:57], v[94:95], 2.0, v[40:41] op_sel_hi:[1,0,1] neg_lo:[0,0,1] neg_hi:[0,0,1]
	v_pk_fma_f32 v[60:61], v[122:123], v[44:45], v[46:47] op_sel:[0,0,1] op_sel_hi:[1,1,0]
	v_pk_fma_f32 v[94:95], v[122:123], v[44:45], v[46:47] op_sel:[0,0,1] op_sel_hi:[1,1,0] neg_lo:[0,0,1] neg_hi:[0,0,1]
	ds_read2_b64 v[44:47], v55 offset0:192 offset1:248
	v_mov_b32_e32 v61, v95
	v_pk_add_f32 v[60:61], v[92:93], v[60:61] neg_lo:[0,1] neg_hi:[0,1]
	v_pk_fma_f32 v[96:97], v[92:93], 2.0, v[60:61] op_sel_hi:[1,0,1] neg_lo:[0,0,1] neg_hi:[0,0,1]
	ds_read2_b64 v[92:95], v75 offset0:112 offset1:168
	s_waitcnt lgkmcnt(1)
	v_pk_mul_f32 v[106:107], v[108:109], v[46:47]
	v_pk_fma_f32 v[108:109], v[104:105], v[46:47], v[106:107] op_sel:[0,0,1] op_sel_hi:[1,1,0]
	v_pk_fma_f32 v[46:47], v[104:105], v[46:47], v[106:107] op_sel:[0,0,1] op_sel_hi:[1,1,0] neg_lo:[0,0,1] neg_hi:[0,0,1]
	v_mov_b32_e32 v109, v47
	s_waitcnt lgkmcnt(0)
	v_pk_add_f32 v[104:105], v[94:95], v[108:109] neg_lo:[0,1] neg_hi:[0,1]
	v_pk_mul_f32 v[46:47], v[98:99], v[44:45]
	v_pk_fma_f32 v[106:107], v[94:95], 2.0, v[104:105] op_sel_hi:[1,0,1] neg_lo:[0,0,1] neg_hi:[0,0,1]
	v_pk_fma_f32 v[94:95], v[122:123], v[44:45], v[46:47] op_sel:[0,0,1] op_sel_hi:[1,1,0]
	v_pk_fma_f32 v[108:109], v[122:123], v[44:45], v[46:47] op_sel:[0,0,1] op_sel_hi:[1,1,0] neg_lo:[0,0,1] neg_hi:[0,0,1]
	ds_read2_b64 v[44:47], v55 offset0:80 offset1:136
	v_mov_b32_e32 v95, v109
	v_pk_add_f32 v[108:109], v[92:93], v[94:95] neg_lo:[0,1] neg_hi:[0,1]
	v_pk_fma_f32 v[124:125], v[92:93], 2.0, v[108:109] op_sel_hi:[1,0,1] neg_lo:[0,0,1] neg_hi:[0,0,1]
	ds_read2_b64 v[92:95], v75 offset1:56
	s_waitcnt lgkmcnt(1)
	v_pk_mul_f32 v[100:101], v[100:101], v[46:47]
	v_pk_mul_f32 v[98:99], v[98:99], v[44:45]
	v_pk_fma_f32 v[126:127], v[102:103], v[46:47], v[100:101] op_sel:[0,0,1] op_sel_hi:[1,1,0]
	v_pk_fma_f32 v[46:47], v[102:103], v[46:47], v[100:101] op_sel:[0,0,1] op_sel_hi:[1,1,0] neg_lo:[0,0,1] neg_hi:[0,0,1]
	v_pk_fma_f32 v[100:101], v[122:123], v[44:45], v[98:99] op_sel:[0,0,1] op_sel_hi:[1,1,0]
	v_pk_fma_f32 v[44:45], v[122:123], v[44:45], v[98:99] op_sel:[0,0,1] op_sel_hi:[1,1,0] neg_lo:[0,0,1] neg_hi:[0,0,1]
	v_mov_b32_e32 v127, v47
	v_mov_b32_e32 v101, v45
	s_waitcnt lgkmcnt(0)
	v_pk_add_f32 v[46:47], v[94:95], v[126:127] neg_lo:[0,1] neg_hi:[0,1]
	v_pk_add_f32 v[44:45], v[92:93], v[100:101] neg_lo:[0,1] neg_hi:[0,1]
	v_pk_fma_f32 v[94:95], v[94:95], 2.0, v[46:47] op_sel_hi:[1,0,1] neg_lo:[0,0,1] neg_hi:[0,0,1]
	v_pk_fma_f32 v[92:93], v[92:93], 2.0, v[44:45] op_sel_hi:[1,0,1] neg_lo:[0,0,1] neg_hi:[0,0,1]
	s_waitcnt lgkmcnt(0)
	; wave barrier
	ds_write2_b64 v180, v[92:93], v[44:45] offset1:16
	ds_write2_b64 v181, v[94:95], v[46:47] offset1:16
	;; [unrolled: 1-line block ×6, first 2 shown]
	s_waitcnt lgkmcnt(0)
	; wave barrier
	s_waitcnt lgkmcnt(0)
	ds_read2_b64 v[44:47], v55 offset0:80 offset1:136
	ds_read2_b64 v[92:95], v202 offset0:48 offset1:104
	;; [unrolled: 1-line block ×3, first 2 shown]
	s_waitcnt lgkmcnt(2)
	v_pk_mul_f32 v[24:25], v[24:25], v[44:45]
	v_pk_fma_f32 v[56:57], v[120:121], v[44:45], v[24:25] op_sel:[0,0,1] op_sel_hi:[1,1,0]
	v_pk_fma_f32 v[24:25], v[120:121], v[44:45], v[24:25] op_sel:[0,0,1] op_sel_hi:[1,1,0] neg_lo:[0,0,1] neg_hi:[0,0,1]
	v_mov_b32_e32 v57, v25
	s_waitcnt lgkmcnt(1)
	v_pk_mul_f32 v[24:25], v[118:119], v[92:93]
	v_pk_fma_f32 v[60:61], v[26:27], v[92:93], v[24:25] op_sel:[0,0,1] op_sel_hi:[1,1,0]
	v_pk_fma_f32 v[24:25], v[26:27], v[92:93], v[24:25] op_sel:[0,0,1] op_sel_hi:[1,1,0] neg_lo:[0,0,1] neg_hi:[0,0,1]
	v_mov_b32_e32 v61, v25
	v_pk_add_f32 v[24:25], v[56:57], v[60:61]
	v_pk_add_f32 v[26:27], v[56:57], v[60:61] neg_lo:[0,1] neg_hi:[0,1]
	s_waitcnt lgkmcnt(0)
	v_pk_fma_f32 v[24:25], v[24:25], 0.5, v[96:97] op_sel_hi:[1,0,1] neg_lo:[1,0,0] neg_hi:[1,0,0]
	v_pk_mul_f32 v[26:27], v[26:27], s[6:7] op_sel_hi:[1,0]
	v_pk_add_f32 v[40:41], v[24:25], v[26:27] op_sel:[0,1] op_sel_hi:[1,0] neg_lo:[0,1] neg_hi:[0,1]
	v_pk_add_f32 v[26:27], v[24:25], v[26:27] op_sel:[0,1] op_sel_hi:[1,0]
	v_mov_b32_e32 v24, v40
	v_mov_b32_e32 v25, v27
	;; [unrolled: 1-line block ×3, first 2 shown]
	v_pk_mul_f32 v[40:41], v[20:21], v[46:47] op_sel:[0,1]
	v_pk_fma_f32 v[44:45], v[20:21], v[46:47], v[40:41] op_sel:[0,0,1] op_sel_hi:[1,0,0] neg_lo:[1,0,0] neg_hi:[1,0,0]
	v_pk_fma_f32 v[20:21], v[20:21], v[46:47], v[40:41] op_sel:[0,0,1] op_sel_hi:[1,0,0]
	v_pk_mul_f32 v[40:41], v[22:23], v[94:95] op_sel:[0,1]
	v_mov_b32_e32 v21, v45
	v_pk_fma_f32 v[44:45], v[22:23], v[94:95], v[40:41] op_sel:[0,0,1] op_sel_hi:[1,0,0] neg_lo:[1,0,0] neg_hi:[1,0,0]
	v_pk_fma_f32 v[22:23], v[22:23], v[94:95], v[40:41] op_sel:[0,0,1] op_sel_hi:[1,0,0]
	v_mov_b32_e32 v23, v45
	v_pk_add_f32 v[40:41], v[20:21], v[22:23]
	v_pk_fma_f32 v[44:45], v[40:41], 0.5, v[98:99] op_sel_hi:[1,0,1] neg_lo:[1,0,0] neg_hi:[1,0,0]
	v_pk_add_f32 v[40:41], v[20:21], v[22:23] neg_lo:[0,1] neg_hi:[0,1]
	v_pk_mul_f32 v[46:47], v[40:41], s[6:7] op_sel_hi:[1,0]
	v_pk_add_f32 v[40:41], v[44:45], v[46:47] op_sel:[0,1] op_sel_hi:[1,0]
	v_pk_add_f32 v[92:93], v[44:45], v[46:47] op_sel:[0,1] op_sel_hi:[1,0] neg_lo:[0,1] neg_hi:[0,1]
	ds_read2_b64 v[44:47], v35 offset0:96 offset1:152
	v_pk_add_f32 v[20:21], v[98:99], v[20:21]
	v_pk_add_f32 v[20:21], v[20:21], v[22:23]
	v_mov_b32_e32 v22, v92
	v_mov_b32_e32 v23, v41
	;; [unrolled: 1-line block ×3, first 2 shown]
	ds_read2_b64 v[92:95], v75 offset1:56
	ds_read2_b64 v[98:101], v55 offset0:192 offset1:248
	s_waitcnt lgkmcnt(2)
	v_pk_mul_f32 v[4:5], v[4:5], v[46:47]
	v_pk_fma_f32 v[102:103], v[116:117], v[46:47], v[4:5] op_sel:[0,0,1] op_sel_hi:[1,1,0]
	v_pk_fma_f32 v[4:5], v[116:117], v[46:47], v[4:5] op_sel:[0,0,1] op_sel_hi:[1,1,0] neg_lo:[0,0,1] neg_hi:[0,0,1]
	v_mov_b32_e32 v103, v5
	s_waitcnt lgkmcnt(0)
	v_pk_mul_f32 v[4:5], v[114:115], v[100:101]
	v_pk_mul_f32 v[0:1], v[0:1], v[44:45]
	v_pk_fma_f32 v[46:47], v[6:7], v[100:101], v[4:5] op_sel:[0,0,1] op_sel_hi:[1,1,0]
	v_pk_fma_f32 v[4:5], v[6:7], v[100:101], v[4:5] op_sel:[0,0,1] op_sel_hi:[1,1,0] neg_lo:[0,0,1] neg_hi:[0,0,1]
	v_pk_fma_f32 v[6:7], v[112:113], v[44:45], v[0:1] op_sel:[0,0,1] op_sel_hi:[1,1,0]
	v_pk_fma_f32 v[0:1], v[112:113], v[44:45], v[0:1] op_sel:[0,0,1] op_sel_hi:[1,1,0] neg_lo:[0,0,1] neg_hi:[0,0,1]
	v_mov_b32_e32 v7, v1
	v_pk_mul_f32 v[0:1], v[110:111], v[98:99]
	v_pk_fma_f32 v[44:45], v[2:3], v[98:99], v[0:1] op_sel:[0,0,1] op_sel_hi:[1,1,0]
	v_pk_fma_f32 v[0:1], v[2:3], v[98:99], v[0:1] op_sel:[0,0,1] op_sel_hi:[1,1,0] neg_lo:[0,0,1] neg_hi:[0,0,1]
	v_mov_b32_e32 v45, v1
	v_pk_add_f32 v[0:1], v[92:93], v[6:7]
	v_pk_add_f32 v[2:3], v[6:7], v[44:45]
	v_pk_add_f32 v[6:7], v[6:7], v[44:45] neg_lo:[0,1] neg_hi:[0,1]
	v_pk_fma_f32 v[2:3], v[2:3], 0.5, v[92:93] op_sel_hi:[1,0,1] neg_lo:[1,0,0] neg_hi:[1,0,0]
	v_pk_mul_f32 v[6:7], v[6:7], s[6:7] op_sel_hi:[1,0]
	v_pk_add_f32 v[0:1], v[0:1], v[44:45]
	v_pk_add_f32 v[44:45], v[2:3], v[6:7] op_sel:[0,1] op_sel_hi:[1,0] neg_lo:[0,1] neg_hi:[0,1]
	v_pk_add_f32 v[2:3], v[2:3], v[6:7] op_sel:[0,1] op_sel_hi:[1,0]
	v_mov_b32_e32 v47, v5
	v_mov_b32_e32 v6, v44
	;; [unrolled: 1-line block ×4, first 2 shown]
	s_waitcnt lgkmcnt(0)
	; wave barrier
	ds_write2_b64 v188, v[0:1], v[6:7] offset1:32
	ds_write_b64 v188, v[2:3] offset:512
	v_pk_add_f32 v[0:1], v[102:103], v[46:47]
	v_pk_add_f32 v[2:3], v[102:103], v[46:47] neg_lo:[0,1] neg_hi:[0,1]
	v_pk_fma_f32 v[0:1], v[0:1], 0.5, v[94:95] op_sel_hi:[1,0,1] neg_lo:[1,0,0] neg_hi:[1,0,0]
	v_pk_mul_f32 v[2:3], v[2:3], s[6:7] op_sel_hi:[1,0]
	v_pk_add_f32 v[6:7], v[0:1], v[2:3] op_sel:[0,1] op_sel_hi:[1,0] neg_lo:[0,1] neg_hi:[0,1]
	v_pk_add_f32 v[0:1], v[0:1], v[2:3] op_sel:[0,1] op_sel_hi:[1,0]
	v_mov_b32_e32 v3, v1
	v_mov_b32_e32 v1, v7
	v_pk_add_f32 v[4:5], v[94:95], v[102:103]
	ds_write_b64 v186, v[0:1] offset:512
	v_pk_add_f32 v[0:1], v[96:97], v[56:57]
	v_pk_add_f32 v[4:5], v[4:5], v[46:47]
	v_mov_b32_e32 v2, v6
	v_pk_add_f32 v[0:1], v[0:1], v[60:61]
	ds_write2_b64 v186, v[4:5], v[2:3] offset1:32
	ds_write2_b64 v187, v[0:1], v[24:25] offset1:32
	ds_write_b64 v187, v[26:27] offset:512
	ds_write2_b64 v189, v[20:21], v[22:23] offset1:32
	ds_write_b64 v189, v[40:41] offset:512
	s_waitcnt lgkmcnt(0)
	; wave barrier
	s_waitcnt lgkmcnt(0)
	ds_read2_b64 v[0:3], v75 offset1:96
	ds_read2_b64 v[44:47], v35 offset0:64 offset1:160
	ds_read2_b64 v[4:7], v55 offset0:128 offset1:224
	ds_read_b64 v[56:57], v75 offset:4608
	s_and_saveexec_b64 s[6:7], s[2:3]
	s_xor_b64 s[2:3], exec, s[6:7]
	s_andn2_saveexec_b64 s[2:3], s[2:3]
	s_cbranch_execz .LBB0_9
; %bb.8:
	v_add_u32_e32 v20, 0xc00, v75
	ds_read2_b64 v[24:27], v75 offset0:56 offset1:152
	ds_read2_b64 v[40:43], v20 offset0:56 offset1:152
	ds_read_b64 v[60:61], v75 offset:5056
	v_add_u32_e32 v20, 0x400, v75
	ds_read2_b64 v[20:23], v20 offset0:120 offset1:216
	s_waitcnt lgkmcnt(2)
	v_mov_b32_e32 v48, v43
	s_waitcnt lgkmcnt(1)
	v_mov_b32_e32 v49, v61
	v_mov_b32_e32 v43, v60
.LBB0_9:
	s_or_b64 exec, exec, s[2:3]
	s_waitcnt lgkmcnt(3)
	v_mov_b32_e32 v60, v3
	v_mov_b32_e32 v94, v2
	s_waitcnt lgkmcnt(2)
	v_mov_b32_e32 v95, v47
	v_mov_b32_e32 v61, v46
	v_pk_mul_f32 v[2:3], v[36:37], v[2:3] op_sel:[0,1] op_sel_hi:[1,0]
	v_pk_mul_f32 v[36:37], v[38:39], v[44:45]
	v_mov_b32_e32 v97, v38
	v_mov_b32_e32 v38, v46
	;; [unrolled: 1-line block ×4, first 2 shown]
	s_waitcnt lgkmcnt(0)
	v_mov_b32_e32 v92, v57
	v_mov_b32_e32 v39, v45
	v_pk_mul_f32 v[44:45], v[52:53], v[46:47]
	v_mov_b32_e32 v46, v4
	v_mov_b32_e32 v47, v6
	;; [unrolled: 1-line block ×4, first 2 shown]
	v_pk_mul_f32 v[46:47], v[50:51], v[46:47]
	v_mov_b32_e32 v50, v5
	v_mov_b32_e32 v51, v7
	;; [unrolled: 1-line block ×3, first 2 shown]
	v_pk_mul_f32 v[4:5], v[54:55], v[92:93]
	v_mul_f32_e32 v55, v28, v6
	v_mul_f32_e32 v7, v29, v7
	v_pk_mul_f32 v[28:29], v[30:31], v[56:57] op_sel:[0,1] op_sel_hi:[1,0]
	v_mov_b32_e32 v52, v30
	v_mov_b32_e32 v30, v2
	;; [unrolled: 1-line block ×4, first 2 shown]
	v_pk_add_f32 v[2:3], v[30:31], v[28:29] neg_lo:[0,1] neg_hi:[0,1]
	v_pk_mul_f32 v[32:33], v[32:33], v[60:61]
	v_mov_b32_e32 v60, v63
	v_mov_b32_e32 v96, v63
	;; [unrolled: 1-line block ×7, first 2 shown]
	v_pk_add_f32 v[6:7], v[54:55], v[6:7]
	v_pk_add_f32 v[28:29], v[28:29], v[2:3]
	v_pk_fma_f32 v[36:37], v[60:61], v[38:39], v[44:45]
	v_pk_fma_f32 v[38:39], v[96:97], v[38:39], v[44:45] neg_lo:[0,0,1] neg_hi:[0,0,1]
	v_pk_fma_f32 v[44:45], v[62:63], v[94:95], v[32:33]
	v_pk_fma_f32 v[54:55], v[58:59], v[50:51], v[46:47]
	v_pk_fma_f32 v[46:47], v[58:59], v[50:51], v[46:47] neg_lo:[0,0,1] neg_hi:[0,0,1]
	v_pk_fma_f32 v[50:51], v[52:53], v[34:35], v[4:5]
	v_mov_b32_e32 v28, v7
	v_pk_fma_f32 v[32:33], v[62:63], v[94:95], v[32:33] neg_lo:[0,0,1] neg_hi:[0,0,1]
	v_pk_fma_f32 v[4:5], v[52:53], v[34:35], v[4:5] neg_lo:[0,0,1] neg_hi:[0,0,1]
	v_mov_b32_e32 v34, v2
	v_mov_b32_e32 v35, v44
	;; [unrolled: 1-line block ×4, first 2 shown]
	v_pk_add_f32 v[30:31], v[6:7], v[28:29]
	v_mov_b32_e32 v37, v39
	v_mov_b32_e32 v45, v33
	;; [unrolled: 1-line block ×4, first 2 shown]
	v_pk_add_f32 v[2:3], v[34:35], v[2:3] neg_lo:[0,1] neg_hi:[0,1]
	v_mov_b32_e32 v34, v39
	v_mov_b32_e32 v35, v6
	;; [unrolled: 1-line block ×3, first 2 shown]
	v_pk_add_f32 v[6:7], v[34:35], v[6:7] neg_lo:[0,1] neg_hi:[0,1]
	v_pk_add_f32 v[34:35], v[36:37], v[54:55]
	v_pk_add_f32 v[38:39], v[44:45], v[50:51]
	v_mov_b32_e32 v4, v5
	v_mov_b32_e32 v5, v54
	;; [unrolled: 1-line block ×4, first 2 shown]
	v_pk_add_f32 v[4:5], v[4:5], v[32:33] neg_lo:[0,1] neg_hi:[0,1]
	v_mov_b32_e32 v31, v35
	v_mov_b32_e32 v28, v38
	v_mov_b32_e32 v36, v34
	v_mov_b32_e32 v37, v29
	v_mov_b32_e32 v44, v30
	v_mov_b32_e32 v45, v39
	s_mov_b32 s22, 0xbeae86e6
	v_pk_add_f32 v[32:33], v[30:31], v[28:29]
	v_pk_add_f32 v[36:37], v[36:37], v[44:45] neg_lo:[0,1] neg_hi:[0,1]
	v_pk_add_f32 v[44:45], v[38:39], v[34:35] neg_lo:[0,1] neg_hi:[0,1]
	v_mov_b32_e32 v50, v4
	v_mov_b32_e32 v51, v3
	;; [unrolled: 1-line block ×5, first 2 shown]
	s_mov_b32 s14, 0x3d64c772
	s_mov_b32 s23, 0x3f08b237
	v_pk_add_f32 v[46:47], v[4:5], v[6:7]
	v_pk_add_f32 v[50:51], v[50:51], v[52:53] neg_lo:[0,1] neg_hi:[0,1]
	v_mov_b32_e32 v52, v2
	v_mov_b32_e32 v5, v7
	v_pk_add_f32 v[32:33], v[34:35], v[32:33]
	s_mov_b32 s15, 0x3f4a47b2
	s_mov_b32 s24, s23
	;; [unrolled: 1-line block ×3, first 2 shown]
	v_pk_add_f32 v[4:5], v[52:53], v[4:5] neg_lo:[0,1] neg_hi:[0,1]
	v_pk_add_f32 v[0:1], v[0:1], v[32:33]
	s_mov_b32 s6, 0xbf955555
	v_pk_mul_f32 v[36:37], v[36:37], s[14:15]
	s_mov_b32 s18, s15
	s_mov_b32 s19, s14
	v_pk_mul_f32 v[50:51], v[50:51], s[24:25]
	v_pk_add_f32 v[34:35], v[46:47], v[2:3]
	v_pk_mul_f32 v[38:39], v[44:45], s[18:19]
	s_mov_b32 s2, 0xbee1c552
	v_pk_mul_f32 v[46:47], v[4:5], s[22:23]
	v_pk_fma_f32 v[32:33], v[32:33], s[6:7], v[0:1] op_sel_hi:[1,0,1]
	v_pk_fma_f32 v[44:45], v[44:45], s[18:19], v[36:37]
	v_pk_fma_f32 v[4:5], v[4:5], s[22:23], v[50:51]
	v_pk_add_f32 v[44:45], v[44:45], v[32:33]
	v_pk_fma_f32 v[4:5], v[34:35], s[2:3], v[4:5] op_sel_hi:[1,0,1]
	v_pk_add_f32 v[52:53], v[44:45], v[4:5] neg_lo:[0,1] neg_hi:[0,1]
	v_pk_add_f32 v[4:5], v[44:45], v[4:5]
	v_mov_b32_e32 v44, v4
	v_mov_b32_e32 v45, v53
	ds_write2_b64 v75, v[0:1], v[44:45] offset1:96
	v_pk_add_f32 v[0:1], v[30:31], v[28:29] neg_lo:[0,1] neg_hi:[0,1]
	v_pk_add_f32 v[2:3], v[6:7], v[2:3] neg_lo:[0,1] neg_hi:[0,1]
	s_mov_b32 s12, 0x3f3bfb3b
	s_mov_b32 s16, 0xbf5ff5aa
	v_mov_b32_e32 v6, v36
	v_mov_b32_e32 v7, v39
	;; [unrolled: 1-line block ×4, first 2 shown]
	v_pk_fma_f32 v[6:7], v[0:1], s[12:13], v[6:7] op_sel_hi:[1,0,1] neg_lo:[0,0,1] neg_hi:[0,0,1]
	v_pk_fma_f32 v[28:29], v[2:3], s[16:17], v[28:29] op_sel_hi:[1,0,1] neg_lo:[0,0,1] neg_hi:[0,0,1]
	v_mov_b32_e32 v39, v37
	v_mov_b32_e32 v47, v51
	v_pk_add_f32 v[6:7], v[6:7], v[32:33]
	v_pk_fma_f32 v[28:29], v[34:35], s[2:3], v[28:29] op_sel_hi:[1,0,1]
	v_pk_fma_f32 v[0:1], v[0:1], s[12:13], v[38:39] op_sel_hi:[1,0,1] neg_lo:[1,0,1] neg_hi:[1,0,1]
	v_pk_fma_f32 v[2:3], v[2:3], s[16:17], v[46:47] op_sel_hi:[1,0,1] neg_lo:[1,0,1] neg_hi:[1,0,1]
	v_pk_add_f32 v[30:31], v[6:7], v[28:29] neg_lo:[0,1] neg_hi:[0,1]
	v_pk_add_f32 v[6:7], v[6:7], v[28:29]
	v_pk_add_f32 v[0:1], v[0:1], v[32:33]
	v_pk_fma_f32 v[2:3], v[34:35], s[2:3], v[2:3] op_sel_hi:[1,0,1]
	v_mov_b32_e32 v28, v30
	v_mov_b32_e32 v29, v7
	;; [unrolled: 1-line block ×3, first 2 shown]
	v_pk_add_f32 v[30:31], v[0:1], v[2:3] neg_lo:[0,1] neg_hi:[0,1]
	v_pk_add_f32 v[0:1], v[0:1], v[2:3]
	v_mov_b32_e32 v2, v0
	v_mov_b32_e32 v3, v31
	v_add_u32_e32 v0, 0x400, v75
	v_mov_b32_e32 v31, v1
	v_add_u32_e32 v1, 0x800, v75
	v_mov_b32_e32 v53, v5
	ds_write2_b64 v0, v[2:3], v[28:29] offset0:64 offset1:160
	ds_write2_b64 v1, v[6:7], v[30:31] offset0:128 offset1:224
	ds_write_b64 v75, v[52:53] offset:4608
	s_and_saveexec_b64 s[20:21], s[0:1]
	s_cbranch_execz .LBB0_11
; %bb.10:
	v_mov_b32_e32 v2, v17
	v_mov_b32_e32 v3, v16
	v_pk_mul_f32 v[38:39], v[2:3], v[22:23]
	v_mov_b32_e32 v4, v19
	v_mov_b32_e32 v5, v18
	;; [unrolled: 1-line block ×4, first 2 shown]
	v_pk_mul_f32 v[16:17], v[16:17], v[22:23]
	v_pk_mul_f32 v[32:33], v[2:3], v[32:33]
	v_pk_fma_f32 v[2:3], v[2:3], v[22:23], v[38:39] neg_lo:[1,0,0] neg_hi:[1,0,0]
	v_pk_mul_f32 v[22:23], v[4:5], v[40:41]
	v_pk_mul_f32 v[28:29], v[14:15], v[42:43] op_sel:[0,1]
	v_mov_b32_e32 v30, v41
	v_mov_b32_e32 v22, v23
	v_pk_mul_f32 v[6:7], v[8:9], v[26:27] op_sel_hi:[1,0]
	v_mov_b32_e32 v26, v27
	v_pk_mul_f32 v[30:31], v[4:5], v[30:31]
	v_pk_fma_f32 v[4:5], v[4:5], v[40:41], v[22:23] neg_lo:[1,0,0] neg_hi:[1,0,0]
	v_pk_fma_f32 v[22:23], v[14:15], v[48:49], v[28:29] op_sel:[0,1,1] op_sel_hi:[1,1,0] neg_lo:[0,0,1] neg_hi:[0,0,1]
	v_pk_fma_f32 v[14:15], v[14:15], v[48:49], v[28:29] op_sel:[0,1,1] op_sel_hi:[1,1,0]
	v_pk_mul_f32 v[36:37], v[12:13], v[42:43] op_sel_hi:[1,0]
	v_mov_b32_e32 v23, v15
	v_pk_fma_f32 v[14:15], v[8:9], v[26:27], v[6:7] op_sel:[0,0,1] op_sel_hi:[1,0,0] neg_lo:[0,0,1] neg_hi:[0,0,1]
	v_pk_fma_f32 v[6:7], v[8:9], v[26:27], v[6:7] op_sel:[0,0,1] op_sel_hi:[1,0,0]
	v_pk_mul_f32 v[34:35], v[10:11], v[20:21] op_sel_hi:[1,0]
	v_mov_b32_e32 v15, v7
	v_pk_fma_f32 v[6:7], v[12:13], v[48:49], v[36:37] op_sel:[0,0,1] op_sel_hi:[1,1,0] neg_lo:[0,0,1] neg_hi:[0,0,1]
	v_pk_fma_f32 v[8:9], v[12:13], v[48:49], v[36:37] op_sel:[0,0,1] op_sel_hi:[1,0,0]
	v_pk_mul_f32 v[18:19], v[18:19], v[40:41]
	v_mov_b32_e32 v7, v9
	v_pk_fma_f32 v[8:9], v[10:11], v[20:21], v[34:35] op_sel:[0,1,1] op_sel_hi:[1,1,0] neg_lo:[0,0,1] neg_hi:[0,0,1]
	v_pk_fma_f32 v[10:11], v[10:11], v[20:21], v[34:35] op_sel:[0,1,1] op_sel_hi:[1,1,0]
	v_mov_b32_e32 v9, v11
	v_mov_b32_e32 v17, v22
	;; [unrolled: 1-line block ×5, first 2 shown]
	v_pk_add_f32 v[10:11], v[22:23], v[14:15]
	v_pk_add_f32 v[12:13], v[6:7], v[8:9]
	v_pk_add_f32 v[20:21], v[14:15], v[22:23] neg_lo:[0,1] neg_hi:[0,1]
	v_pk_add_f32 v[26:27], v[8:9], v[6:7] neg_lo:[0,1] neg_hi:[0,1]
	v_pk_add_f32 v[14:15], v[16:17], v[32:33]
	v_pk_add_f32 v[6:7], v[18:19], v[30:31]
	v_mov_b32_e32 v5, v6
	v_mov_b32_e32 v3, v14
	v_pk_add_f32 v[8:9], v[4:5], v[2:3] neg_lo:[0,1] neg_hi:[0,1]
	v_mov_b32_e32 v18, v8
	v_pk_add_f32 v[22:23], v[8:9], v[26:27]
	v_mov_b32_e32 v28, v8
	v_mov_b32_e32 v29, v21
	;; [unrolled: 1-line block ×4, first 2 shown]
	v_pk_add_f32 v[8:9], v[28:29], v[8:9] neg_lo:[0,1] neg_hi:[0,1]
	v_mov_b32_e32 v28, v13
	v_mov_b32_e32 v29, v4
	;; [unrolled: 1-line block ×4, first 2 shown]
	v_pk_add_f32 v[2:3], v[28:29], v[4:5]
	v_pk_add_f32 v[4:5], v[6:7], v[14:15]
	v_pk_add_f32 v[28:29], v[2:3], v[4:5]
	v_mov_b32_e32 v2, v11
	v_mov_b32_e32 v5, v7
	v_pk_add_f32 v[30:31], v[2:3], v[4:5] neg_lo:[0,1] neg_hi:[0,1]
	v_mov_b32_e32 v5, v15
	v_mov_b32_e32 v2, v13
	;; [unrolled: 1-line block ×4, first 2 shown]
	v_pk_add_f32 v[2:3], v[4:5], v[2:3] neg_lo:[0,1] neg_hi:[0,1]
	v_pk_add_f32 v[16:17], v[16:17], v[18:19] neg_lo:[0,1] neg_hi:[0,1]
	v_pk_mul_f32 v[8:9], v[8:9], s[24:25]
	v_pk_add_f32 v[24:25], v[24:25], v[28:29]
	v_pk_mul_f32 v[2:3], v[2:3], s[14:15]
	v_pk_mul_f32 v[18:19], v[16:17], s[22:23]
	v_pk_add_f32 v[22:23], v[22:23], v[20:21]
	v_pk_fma_f32 v[16:17], v[16:17], s[22:23], v[8:9]
	v_pk_fma_f32 v[4:5], v[30:31], s[18:19], v[2:3]
	v_pk_fma_f32 v[28:29], v[28:29], s[6:7], v[24:25] op_sel_hi:[1,0,1]
	v_pk_fma_f32 v[16:17], v[22:23], s[2:3], v[16:17] op_sel_hi:[1,0,1]
	v_pk_add_f32 v[4:5], v[4:5], v[28:29]
	v_pk_mul_f32 v[32:33], v[30:31], s[18:19]
	v_pk_add_f32 v[30:31], v[4:5], v[16:17]
	v_pk_add_f32 v[4:5], v[4:5], v[16:17] neg_lo:[0,1] neg_hi:[0,1]
	v_mov_b32_e32 v16, v30
	v_mov_b32_e32 v17, v5
	;; [unrolled: 1-line block ×4, first 2 shown]
	ds_write2_b64 v75, v[24:25], v[16:17] offset0:56 offset1:152
	v_pk_add_f32 v[16:17], v[26:27], v[20:21] neg_lo:[0,1] neg_hi:[0,1]
	v_mov_b32_e32 v20, v18
	v_mov_b32_e32 v21, v9
	v_pk_add_f32 v[6:7], v[6:7], v[14:15] neg_lo:[0,1] neg_hi:[0,1]
	v_mov_b32_e32 v10, v32
	v_mov_b32_e32 v11, v3
	;; [unrolled: 1-line block ×4, first 2 shown]
	v_pk_fma_f32 v[20:21], v[16:17], s[16:17], v[20:21] op_sel_hi:[1,0,1] neg_lo:[1,0,1] neg_hi:[1,0,1]
	v_pk_fma_f32 v[10:11], v[6:7], s[12:13], v[10:11] op_sel_hi:[1,0,1] neg_lo:[1,0,1] neg_hi:[1,0,1]
	;; [unrolled: 1-line block ×4, first 2 shown]
	v_pk_fma_f32 v[20:21], v[22:23], s[2:3], v[20:21] op_sel_hi:[1,0,1]
	v_pk_add_f32 v[10:11], v[10:11], v[28:29]
	v_pk_fma_f32 v[8:9], v[22:23], s[2:3], v[8:9] op_sel_hi:[1,0,1]
	v_pk_add_f32 v[2:3], v[2:3], v[28:29]
	v_pk_add_f32 v[12:13], v[10:11], v[20:21]
	v_pk_add_f32 v[10:11], v[10:11], v[20:21] neg_lo:[0,1] neg_hi:[0,1]
	v_pk_add_f32 v[6:7], v[2:3], v[8:9] neg_lo:[0,1] neg_hi:[0,1]
	v_pk_add_f32 v[2:3], v[2:3], v[8:9]
	v_mov_b32_e32 v15, v11
	v_mov_b32_e32 v9, v3
	;; [unrolled: 1-line block ×4, first 2 shown]
	v_add_u32_e32 v5, 0xc00, v75
	v_mov_b32_e32 v14, v12
	v_mov_b32_e32 v8, v6
	ds_write2_b64 v5, v[2:3], v[10:11] offset0:56 offset1:152
	v_mov_b32_e32 v5, v31
	ds_write2_b64 v0, v[14:15], v[8:9] offset0:120 offset1:216
	ds_write_b64 v75, v[4:5] offset:5056
.LBB0_11:
	s_or_b64 exec, exec, s[20:21]
	s_waitcnt lgkmcnt(0)
	; wave barrier
	s_waitcnt lgkmcnt(0)
	ds_read2_b64 v[2:5], v75 offset1:56
	v_mad_u64_u32 v[6:7], s[0:1], s10, v74, 0
	v_mov_b32_e32 v8, v7
	v_mad_u64_u32 v[8:9], s[0:1], s11, v74, v[8:9]
	v_mov_b32_e32 v7, v8
	s_waitcnt lgkmcnt(0)
	v_mul_f32_e32 v8, v91, v3
	v_fmac_f32_e32 v8, v90, v2
	v_mul_f32_e32 v2, v91, v2
	s_mov_b32 s0, 0x18618618
	v_fma_f32 v2, v90, v3, -v2
	s_mov_b32 s1, 0x3f586186
	v_cvt_f64_f32_e32 v[2:3], v2
	v_cvt_f64_f32_e32 v[8:9], v8
	v_mul_f64 v[2:3], v[2:3], s[0:1]
	v_mul_f64 v[8:9], v[8:9], s[0:1]
	v_cvt_f32_f64_e32 v11, v[2:3]
	v_mad_u64_u32 v[2:3], s[2:3], s8, v78, 0
	v_cvt_f32_f64_e32 v10, v[8:9]
	v_mov_b32_e32 v8, v3
	v_mad_u64_u32 v[8:9], s[2:3], s9, v78, v[8:9]
	v_lshlrev_b64 v[6:7], 3, v[6:7]
	v_mov_b32_e32 v3, v8
	v_mov_b32_e32 v8, s5
	v_add_co_u32_e32 v14, vcc, s4, v6
	v_addc_co_u32_e32 v15, vcc, v8, v7, vcc
	ds_read2_b64 v[6:9], v1 offset0:80 offset1:136
	v_lshlrev_b64 v[2:3], 3, v[2:3]
	v_add_co_u32_e32 v2, vcc, v14, v2
	v_addc_co_u32_e32 v3, vcc, v15, v3, vcc
	global_store_dwordx2 v[2:3], v[10:11], off
	s_waitcnt lgkmcnt(0)
	v_mul_f32_e32 v10, v89, v7
	v_fmac_f32_e32 v10, v88, v6
	v_mul_f32_e32 v6, v89, v6
	v_fma_f32 v6, v88, v7, -v6
	v_cvt_f64_f32_e32 v[10:11], v10
	v_cvt_f64_f32_e32 v[6:7], v6
	v_mov_b32_e32 v16, 0xa80
	v_mul_f64 v[10:11], v[10:11], s[0:1]
	v_mul_f64 v[6:7], v[6:7], s[0:1]
	v_mad_u64_u32 v[2:3], s[2:3], s8, v16, v[2:3]
	v_cvt_f32_f64_e32 v10, v[10:11]
	v_cvt_f32_f64_e32 v11, v[6:7]
	s_mul_i32 s2, s9, 0xa80
	v_mul_f32_e32 v6, v83, v5
	v_add_u32_e32 v3, s2, v3
	v_fmac_f32_e32 v6, v82, v4
	v_mul_f32_e32 v4, v83, v4
	v_mov_b32_e32 v17, 0xfffff740
	global_store_dwordx2 v[2:3], v[10:11], off
	v_fma_f32 v4, v82, v5, -v4
	v_mad_u64_u32 v[10:11], s[4:5], s8, v17, v[2:3]
	v_mul_f32_e32 v2, v81, v9
	v_cvt_f64_f32_e32 v[6:7], v6
	v_cvt_f64_f32_e32 v[4:5], v4
	s_mul_i32 s3, s9, 0xfffff740
	v_fmac_f32_e32 v2, v80, v8
	v_mul_f64 v[6:7], v[6:7], s[0:1]
	v_mul_f64 v[4:5], v[4:5], s[0:1]
	s_sub_i32 s3, s3, s8
	v_cvt_f64_f32_e32 v[2:3], v2
	v_cvt_f32_f64_e32 v6, v[6:7]
	v_cvt_f32_f64_e32 v7, v[4:5]
	v_add_u32_e32 v11, s3, v11
	v_mul_f64 v[2:3], v[2:3], s[0:1]
	global_store_dwordx2 v[10:11], v[6:7], off
	v_cvt_f32_f64_e32 v6, v[2:3]
	v_mul_f32_e32 v2, v81, v8
	v_fma_f32 v2, v80, v9, -v2
	v_cvt_f64_f32_e32 v[2:3], v2
	v_mul_f64 v[2:3], v[2:3], s[0:1]
	v_cvt_f32_f64_e32 v7, v[2:3]
	ds_read2_b64 v[2:5], v75 offset0:112 offset1:168
	v_mad_u64_u32 v[10:11], s[4:5], s8, v16, v[10:11]
	v_add_u32_e32 v11, s2, v11
	global_store_dwordx2 v[10:11], v[6:7], off
	s_waitcnt lgkmcnt(0)
	v_mul_f32_e32 v6, v87, v3
	v_fmac_f32_e32 v6, v86, v2
	v_cvt_f64_f32_e32 v[6:7], v6
	v_mul_f64 v[6:7], v[6:7], s[0:1]
	v_cvt_f32_f64_e32 v12, v[6:7]
	ds_read2_b64 v[6:9], v1 offset0:192 offset1:248
	v_mul_f32_e32 v2, v87, v2
	v_fma_f32 v2, v86, v3, -v2
	v_cvt_f64_f32_e32 v[2:3], v2
	v_mul_f64 v[2:3], v[2:3], s[0:1]
	s_waitcnt lgkmcnt(0)
	v_mul_f32_e32 v1, v85, v7
	v_fmac_f32_e32 v1, v84, v6
	v_cvt_f32_f64_e32 v13, v[2:3]
	v_mad_u64_u32 v[2:3], s[4:5], s8, v17, v[10:11]
	v_cvt_f64_f32_e32 v[10:11], v1
	v_mul_f32_e32 v1, v85, v6
	v_fma_f32 v1, v84, v7, -v1
	v_cvt_f64_f32_e32 v[6:7], v1
	v_mul_f64 v[10:11], v[10:11], s[0:1]
	v_mul_f64 v[6:7], v[6:7], s[0:1]
	v_add_u32_e32 v3, s3, v3
	v_cvt_f32_f64_e32 v10, v[10:11]
	v_cvt_f32_f64_e32 v11, v[6:7]
	v_mad_u64_u32 v[6:7], s[4:5], s8, v79, 0
	global_store_dwordx2 v[2:3], v[12:13], off
	v_mov_b32_e32 v12, v7
	v_mad_u64_u32 v[12:13], s[4:5], s9, v79, v[12:13]
	v_mov_b32_e32 v7, v12
	v_lshlrev_b64 v[6:7], 3, v[6:7]
	v_add_co_u32_e32 v6, vcc, v14, v6
	v_mul_f32_e32 v1, v77, v5
	v_addc_co_u32_e32 v7, vcc, v15, v7, vcc
	v_fmac_f32_e32 v1, v76, v4
	global_store_dwordx2 v[6:7], v[10:11], off
	v_cvt_f64_f32_e32 v[6:7], v1
	v_mul_f32_e32 v1, v77, v4
	v_fma_f32 v1, v76, v5, -v1
	v_cvt_f64_f32_e32 v[4:5], v1
	v_mul_f64 v[6:7], v[6:7], s[0:1]
	v_mul_f64 v[4:5], v[4:5], s[0:1]
	v_mov_b32_e32 v1, 0x1c0
	v_cvt_f32_f64_e32 v6, v[6:7]
	v_cvt_f32_f64_e32 v7, v[4:5]
	v_mad_u64_u32 v[4:5], s[4:5], s8, v1, v[2:3]
	v_mul_f32_e32 v1, v73, v9
	v_fmac_f32_e32 v1, v72, v8
	s_mul_i32 s4, s9, 0x1c0
	v_cvt_f64_f32_e32 v[2:3], v1
	v_mul_f32_e32 v1, v73, v8
	v_add_u32_e32 v5, s4, v5
	v_mul_f64 v[2:3], v[2:3], s[0:1]
	v_fma_f32 v1, v72, v9, -v1
	global_store_dwordx2 v[4:5], v[6:7], off
	v_cvt_f32_f64_e32 v6, v[2:3]
	v_cvt_f64_f32_e32 v[2:3], v1
	v_mul_f64 v[2:3], v[2:3], s[0:1]
	v_cvt_f32_f64_e32 v7, v[2:3]
	ds_read2_b64 v[0:3], v0 offset0:96 offset1:152
	v_mad_u64_u32 v[8:9], s[4:5], s8, v16, v[4:5]
	v_add_u32_e32 v9, s2, v9
	global_store_dwordx2 v[8:9], v[6:7], off
	s_waitcnt lgkmcnt(0)
	v_mul_f32_e32 v4, v71, v1
	v_fmac_f32_e32 v4, v70, v0
	v_mul_f32_e32 v0, v71, v0
	v_fma_f32 v0, v70, v1, -v0
	v_cvt_f64_f32_e32 v[0:1], v0
	v_cvt_f64_f32_e32 v[4:5], v4
	v_mul_f64 v[0:1], v[0:1], s[0:1]
	v_mul_f64 v[4:5], v[4:5], s[0:1]
	v_cvt_f32_f64_e32 v11, v[0:1]
	v_add_u32_e32 v0, 0x1000, v75
	v_cvt_f32_f64_e32 v10, v[4:5]
	ds_read2_b64 v[4:7], v0 offset0:48 offset1:104
	v_mad_u64_u32 v[0:1], s[4:5], s8, v17, v[8:9]
	v_add_u32_e32 v1, s3, v1
	global_store_dwordx2 v[0:1], v[10:11], off
	s_waitcnt lgkmcnt(0)
	v_mul_f32_e32 v8, v69, v5
	v_fmac_f32_e32 v8, v68, v4
	v_mul_f32_e32 v4, v69, v4
	v_fma_f32 v4, v68, v5, -v4
	v_cvt_f64_f32_e32 v[8:9], v8
	v_cvt_f64_f32_e32 v[4:5], v4
	v_mul_f64 v[8:9], v[8:9], s[0:1]
	v_mul_f64 v[4:5], v[4:5], s[0:1]
	v_cvt_f32_f64_e32 v8, v[8:9]
	v_cvt_f32_f64_e32 v9, v[4:5]
	v_mul_f32_e32 v4, v67, v3
	v_fmac_f32_e32 v4, v66, v2
	v_mul_f32_e32 v2, v67, v2
	v_fma_f32 v2, v66, v3, -v2
	v_cvt_f64_f32_e32 v[4:5], v4
	v_cvt_f64_f32_e32 v[2:3], v2
	v_mul_f64 v[4:5], v[4:5], s[0:1]
	v_mul_f64 v[2:3], v[2:3], s[0:1]
	v_cvt_f32_f64_e32 v4, v[4:5]
	v_cvt_f32_f64_e32 v5, v[2:3]
	v_mul_f32_e32 v2, v65, v7
	v_fmac_f32_e32 v2, v64, v6
	v_mad_u64_u32 v[0:1], s[4:5], s8, v16, v[0:1]
	v_cvt_f64_f32_e32 v[2:3], v2
	v_add_u32_e32 v1, s2, v1
	v_mul_f64 v[2:3], v[2:3], s[0:1]
	global_store_dwordx2 v[0:1], v[8:9], off
	v_mad_u64_u32 v[0:1], s[4:5], s8, v17, v[0:1]
	v_cvt_f32_f64_e32 v2, v[2:3]
	v_mul_f32_e32 v3, v65, v6
	v_add_u32_e32 v1, s3, v1
	v_fma_f32 v3, v64, v7, -v3
	global_store_dwordx2 v[0:1], v[4:5], off
	v_cvt_f64_f32_e32 v[4:5], v3
	v_mul_f64 v[4:5], v[4:5], s[0:1]
	v_mad_u64_u32 v[0:1], s[0:1], s8, v16, v[0:1]
	v_cvt_f32_f64_e32 v3, v[4:5]
	v_add_u32_e32 v1, s2, v1
	global_store_dwordx2 v[0:1], v[2:3], off
.LBB0_12:
	s_endpgm
	.section	.rodata,"a",@progbits
	.p2align	6, 0x0
	.amdhsa_kernel bluestein_single_fwd_len672_dim1_sp_op_CI_CI
		.amdhsa_group_segment_fixed_size 5376
		.amdhsa_private_segment_fixed_size 0
		.amdhsa_kernarg_size 104
		.amdhsa_user_sgpr_count 6
		.amdhsa_user_sgpr_private_segment_buffer 1
		.amdhsa_user_sgpr_dispatch_ptr 0
		.amdhsa_user_sgpr_queue_ptr 0
		.amdhsa_user_sgpr_kernarg_segment_ptr 1
		.amdhsa_user_sgpr_dispatch_id 0
		.amdhsa_user_sgpr_flat_scratch_init 0
		.amdhsa_user_sgpr_kernarg_preload_length 0
		.amdhsa_user_sgpr_kernarg_preload_offset 0
		.amdhsa_user_sgpr_private_segment_size 0
		.amdhsa_uses_dynamic_stack 0
		.amdhsa_system_sgpr_private_segment_wavefront_offset 0
		.amdhsa_system_sgpr_workgroup_id_x 1
		.amdhsa_system_sgpr_workgroup_id_y 0
		.amdhsa_system_sgpr_workgroup_id_z 0
		.amdhsa_system_sgpr_workgroup_info 0
		.amdhsa_system_vgpr_workitem_id 0
		.amdhsa_next_free_vgpr 214
		.amdhsa_next_free_sgpr 26
		.amdhsa_accum_offset 216
		.amdhsa_reserve_vcc 1
		.amdhsa_reserve_flat_scratch 0
		.amdhsa_float_round_mode_32 0
		.amdhsa_float_round_mode_16_64 0
		.amdhsa_float_denorm_mode_32 3
		.amdhsa_float_denorm_mode_16_64 3
		.amdhsa_dx10_clamp 1
		.amdhsa_ieee_mode 1
		.amdhsa_fp16_overflow 0
		.amdhsa_tg_split 0
		.amdhsa_exception_fp_ieee_invalid_op 0
		.amdhsa_exception_fp_denorm_src 0
		.amdhsa_exception_fp_ieee_div_zero 0
		.amdhsa_exception_fp_ieee_overflow 0
		.amdhsa_exception_fp_ieee_underflow 0
		.amdhsa_exception_fp_ieee_inexact 0
		.amdhsa_exception_int_div_zero 0
	.end_amdhsa_kernel
	.text
.Lfunc_end0:
	.size	bluestein_single_fwd_len672_dim1_sp_op_CI_CI, .Lfunc_end0-bluestein_single_fwd_len672_dim1_sp_op_CI_CI
                                        ; -- End function
	.section	.AMDGPU.csdata,"",@progbits
; Kernel info:
; codeLenInByte = 12432
; NumSgprs: 30
; NumVgprs: 214
; NumAgprs: 0
; TotalNumVgprs: 214
; ScratchSize: 0
; MemoryBound: 0
; FloatMode: 240
; IeeeMode: 1
; LDSByteSize: 5376 bytes/workgroup (compile time only)
; SGPRBlocks: 3
; VGPRBlocks: 26
; NumSGPRsForWavesPerEU: 30
; NumVGPRsForWavesPerEU: 214
; AccumOffset: 216
; Occupancy: 2
; WaveLimiterHint : 1
; COMPUTE_PGM_RSRC2:SCRATCH_EN: 0
; COMPUTE_PGM_RSRC2:USER_SGPR: 6
; COMPUTE_PGM_RSRC2:TRAP_HANDLER: 0
; COMPUTE_PGM_RSRC2:TGID_X_EN: 1
; COMPUTE_PGM_RSRC2:TGID_Y_EN: 0
; COMPUTE_PGM_RSRC2:TGID_Z_EN: 0
; COMPUTE_PGM_RSRC2:TIDIG_COMP_CNT: 0
; COMPUTE_PGM_RSRC3_GFX90A:ACCUM_OFFSET: 53
; COMPUTE_PGM_RSRC3_GFX90A:TG_SPLIT: 0
	.text
	.p2alignl 6, 3212836864
	.fill 256, 4, 3212836864
	.type	__hip_cuid_a0624a99ad31c454,@object ; @__hip_cuid_a0624a99ad31c454
	.section	.bss,"aw",@nobits
	.globl	__hip_cuid_a0624a99ad31c454
__hip_cuid_a0624a99ad31c454:
	.byte	0                               ; 0x0
	.size	__hip_cuid_a0624a99ad31c454, 1

	.ident	"AMD clang version 19.0.0git (https://github.com/RadeonOpenCompute/llvm-project roc-6.4.0 25133 c7fe45cf4b819c5991fe208aaa96edf142730f1d)"
	.section	".note.GNU-stack","",@progbits
	.addrsig
	.addrsig_sym __hip_cuid_a0624a99ad31c454
	.amdgpu_metadata
---
amdhsa.kernels:
  - .agpr_count:     0
    .args:
      - .actual_access:  read_only
        .address_space:  global
        .offset:         0
        .size:           8
        .value_kind:     global_buffer
      - .actual_access:  read_only
        .address_space:  global
        .offset:         8
        .size:           8
        .value_kind:     global_buffer
      - .actual_access:  read_only
        .address_space:  global
        .offset:         16
        .size:           8
        .value_kind:     global_buffer
      - .actual_access:  read_only
        .address_space:  global
        .offset:         24
        .size:           8
        .value_kind:     global_buffer
      - .actual_access:  read_only
        .address_space:  global
        .offset:         32
        .size:           8
        .value_kind:     global_buffer
      - .offset:         40
        .size:           8
        .value_kind:     by_value
      - .address_space:  global
        .offset:         48
        .size:           8
        .value_kind:     global_buffer
      - .address_space:  global
        .offset:         56
        .size:           8
        .value_kind:     global_buffer
      - .address_space:  global
        .offset:         64
        .size:           8
        .value_kind:     global_buffer
      - .address_space:  global
        .offset:         72
        .size:           8
        .value_kind:     global_buffer
      - .offset:         80
        .size:           4
        .value_kind:     by_value
      - .address_space:  global
        .offset:         88
        .size:           8
        .value_kind:     global_buffer
      - .address_space:  global
        .offset:         96
        .size:           8
        .value_kind:     global_buffer
    .group_segment_fixed_size: 5376
    .kernarg_segment_align: 8
    .kernarg_segment_size: 104
    .language:       OpenCL C
    .language_version:
      - 2
      - 0
    .max_flat_workgroup_size: 56
    .name:           bluestein_single_fwd_len672_dim1_sp_op_CI_CI
    .private_segment_fixed_size: 0
    .sgpr_count:     30
    .sgpr_spill_count: 0
    .symbol:         bluestein_single_fwd_len672_dim1_sp_op_CI_CI.kd
    .uniform_work_group_size: 1
    .uses_dynamic_stack: false
    .vgpr_count:     214
    .vgpr_spill_count: 0
    .wavefront_size: 64
amdhsa.target:   amdgcn-amd-amdhsa--gfx90a
amdhsa.version:
  - 1
  - 2
...

	.end_amdgpu_metadata
